;; amdgpu-corpus repo=ROCm/rocBLAS kind=compiled arch=gfx906 opt=O3
	.amdgcn_target "amdgcn-amd-amdhsa--gfx906"
	.amdhsa_code_object_version 6
	.section	.text._ZL26rocblas_dgmm_gfx942_kernelILi32ELi32ELb0EPKfPfEviiT2_lllS3_lllT3_lll,"axG",@progbits,_ZL26rocblas_dgmm_gfx942_kernelILi32ELi32ELb0EPKfPfEviiT2_lllS3_lllT3_lll,comdat
	.globl	_ZL26rocblas_dgmm_gfx942_kernelILi32ELi32ELb0EPKfPfEviiT2_lllS3_lllT3_lll ; -- Begin function _ZL26rocblas_dgmm_gfx942_kernelILi32ELi32ELb0EPKfPfEviiT2_lllS3_lllT3_lll
	.p2align	8
	.type	_ZL26rocblas_dgmm_gfx942_kernelILi32ELi32ELb0EPKfPfEviiT2_lllS3_lllT3_lll,@function
_ZL26rocblas_dgmm_gfx942_kernelILi32ELi32ELb0EPKfPfEviiT2_lllS3_lllT3_lll: ; @_ZL26rocblas_dgmm_gfx942_kernelILi32ELi32ELb0EPKfPfEviiT2_lllS3_lllT3_lll
; %bb.0:
	s_endpgm
	.section	.rodata,"a",@progbits
	.p2align	6, 0x0
	.amdhsa_kernel _ZL26rocblas_dgmm_gfx942_kernelILi32ELi32ELb0EPKfPfEviiT2_lllS3_lllT3_lll
		.amdhsa_group_segment_fixed_size 0
		.amdhsa_private_segment_fixed_size 0
		.amdhsa_kernarg_size 104
		.amdhsa_user_sgpr_count 6
		.amdhsa_user_sgpr_private_segment_buffer 1
		.amdhsa_user_sgpr_dispatch_ptr 0
		.amdhsa_user_sgpr_queue_ptr 0
		.amdhsa_user_sgpr_kernarg_segment_ptr 1
		.amdhsa_user_sgpr_dispatch_id 0
		.amdhsa_user_sgpr_flat_scratch_init 0
		.amdhsa_user_sgpr_private_segment_size 0
		.amdhsa_uses_dynamic_stack 0
		.amdhsa_system_sgpr_private_segment_wavefront_offset 0
		.amdhsa_system_sgpr_workgroup_id_x 1
		.amdhsa_system_sgpr_workgroup_id_y 0
		.amdhsa_system_sgpr_workgroup_id_z 0
		.amdhsa_system_sgpr_workgroup_info 0
		.amdhsa_system_vgpr_workitem_id 0
		.amdhsa_next_free_vgpr 1
		.amdhsa_next_free_sgpr 0
		.amdhsa_reserve_vcc 0
		.amdhsa_reserve_flat_scratch 0
		.amdhsa_float_round_mode_32 0
		.amdhsa_float_round_mode_16_64 0
		.amdhsa_float_denorm_mode_32 3
		.amdhsa_float_denorm_mode_16_64 3
		.amdhsa_dx10_clamp 1
		.amdhsa_ieee_mode 1
		.amdhsa_fp16_overflow 0
		.amdhsa_exception_fp_ieee_invalid_op 0
		.amdhsa_exception_fp_denorm_src 0
		.amdhsa_exception_fp_ieee_div_zero 0
		.amdhsa_exception_fp_ieee_overflow 0
		.amdhsa_exception_fp_ieee_underflow 0
		.amdhsa_exception_fp_ieee_inexact 0
		.amdhsa_exception_int_div_zero 0
	.end_amdhsa_kernel
	.section	.text._ZL26rocblas_dgmm_gfx942_kernelILi32ELi32ELb0EPKfPfEviiT2_lllS3_lllT3_lll,"axG",@progbits,_ZL26rocblas_dgmm_gfx942_kernelILi32ELi32ELb0EPKfPfEviiT2_lllS3_lllT3_lll,comdat
.Lfunc_end0:
	.size	_ZL26rocblas_dgmm_gfx942_kernelILi32ELi32ELb0EPKfPfEviiT2_lllS3_lllT3_lll, .Lfunc_end0-_ZL26rocblas_dgmm_gfx942_kernelILi32ELi32ELb0EPKfPfEviiT2_lllS3_lllT3_lll
                                        ; -- End function
	.set _ZL26rocblas_dgmm_gfx942_kernelILi32ELi32ELb0EPKfPfEviiT2_lllS3_lllT3_lll.num_vgpr, 0
	.set _ZL26rocblas_dgmm_gfx942_kernelILi32ELi32ELb0EPKfPfEviiT2_lllS3_lllT3_lll.num_agpr, 0
	.set _ZL26rocblas_dgmm_gfx942_kernelILi32ELi32ELb0EPKfPfEviiT2_lllS3_lllT3_lll.numbered_sgpr, 0
	.set _ZL26rocblas_dgmm_gfx942_kernelILi32ELi32ELb0EPKfPfEviiT2_lllS3_lllT3_lll.num_named_barrier, 0
	.set _ZL26rocblas_dgmm_gfx942_kernelILi32ELi32ELb0EPKfPfEviiT2_lllS3_lllT3_lll.private_seg_size, 0
	.set _ZL26rocblas_dgmm_gfx942_kernelILi32ELi32ELb0EPKfPfEviiT2_lllS3_lllT3_lll.uses_vcc, 0
	.set _ZL26rocblas_dgmm_gfx942_kernelILi32ELi32ELb0EPKfPfEviiT2_lllS3_lllT3_lll.uses_flat_scratch, 0
	.set _ZL26rocblas_dgmm_gfx942_kernelILi32ELi32ELb0EPKfPfEviiT2_lllS3_lllT3_lll.has_dyn_sized_stack, 0
	.set _ZL26rocblas_dgmm_gfx942_kernelILi32ELi32ELb0EPKfPfEviiT2_lllS3_lllT3_lll.has_recursion, 0
	.set _ZL26rocblas_dgmm_gfx942_kernelILi32ELi32ELb0EPKfPfEviiT2_lllS3_lllT3_lll.has_indirect_call, 0
	.section	.AMDGPU.csdata,"",@progbits
; Kernel info:
; codeLenInByte = 4
; TotalNumSgprs: 4
; NumVgprs: 0
; ScratchSize: 0
; MemoryBound: 0
; FloatMode: 240
; IeeeMode: 1
; LDSByteSize: 0 bytes/workgroup (compile time only)
; SGPRBlocks: 0
; VGPRBlocks: 0
; NumSGPRsForWavesPerEU: 4
; NumVGPRsForWavesPerEU: 1
; Occupancy: 10
; WaveLimiterHint : 0
; COMPUTE_PGM_RSRC2:SCRATCH_EN: 0
; COMPUTE_PGM_RSRC2:USER_SGPR: 6
; COMPUTE_PGM_RSRC2:TRAP_HANDLER: 0
; COMPUTE_PGM_RSRC2:TGID_X_EN: 1
; COMPUTE_PGM_RSRC2:TGID_Y_EN: 0
; COMPUTE_PGM_RSRC2:TGID_Z_EN: 0
; COMPUTE_PGM_RSRC2:TIDIG_COMP_CNT: 0
	.section	.text._ZL19rocblas_dgmm_kernelILi16ELi16ELb0EPKfPfEviiT2_lllS3_lllT3_llli,"axG",@progbits,_ZL19rocblas_dgmm_kernelILi16ELi16ELb0EPKfPfEviiT2_lllS3_lllT3_llli,comdat
	.globl	_ZL19rocblas_dgmm_kernelILi16ELi16ELb0EPKfPfEviiT2_lllS3_lllT3_llli ; -- Begin function _ZL19rocblas_dgmm_kernelILi16ELi16ELb0EPKfPfEviiT2_lllS3_lllT3_llli
	.p2align	8
	.type	_ZL19rocblas_dgmm_kernelILi16ELi16ELb0EPKfPfEviiT2_lllS3_lllT3_llli,@function
_ZL19rocblas_dgmm_kernelILi16ELi16ELb0EPKfPfEviiT2_lllS3_lllT3_llli: ; @_ZL19rocblas_dgmm_kernelILi16ELi16ELb0EPKfPfEviiT2_lllS3_lllT3_llli
; %bb.0:
	s_load_dwordx2 s[2:3], s[4:5], 0x0
	v_lshl_add_u32 v0, s6, 4, v0
	v_lshl_add_u32 v2, s7, 4, v1
	s_waitcnt lgkmcnt(0)
	v_cmp_gt_i32_e32 vcc, s2, v0
	v_cmp_gt_i32_e64 s[0:1], s3, v2
	s_and_b64 s[0:1], vcc, s[0:1]
	s_and_saveexec_b64 s[6:7], s[0:1]
	s_cbranch_execz .LBB1_3
; %bb.1:
	s_load_dwordx8 s[36:43], s[4:5], 0x48
	s_load_dwordx16 s[12:27], s[4:5], 0x8
	v_ashrrev_i32_e32 v1, 31, v0
	v_lshlrev_b64 v[5:6], 2, v[0:1]
	s_waitcnt lgkmcnt(0)
	s_lshl_b64 s[0:1], s[38:39], 2
	s_add_u32 s6, s36, s0
	s_addc_u32 s7, s37, s1
	s_lshl_b64 s[0:1], s[22:23], 2
	s_add_u32 s9, s20, s0
	s_addc_u32 s10, s21, s1
	s_lshl_b64 s[0:1], s[14:15], 2
	s_mul_i32 s2, s19, s8
	s_add_u32 s11, s12, s0
	s_mul_hi_u32 s0, s18, s8
	s_addc_u32 s12, s13, s1
	s_add_i32 s1, s0, s2
	s_mul_i32 s0, s18, s8
	s_lshl_b64 s[0:1], s[0:1], 2
	s_add_u32 s2, s11, s0
	s_addc_u32 s11, s12, s1
	s_mul_i32 s0, s27, s8
	s_mul_hi_u32 s1, s26, s8
	s_add_i32 s1, s1, s0
	s_mul_i32 s0, s26, s8
	s_lshl_b64 s[0:1], s[0:1], 2
	s_add_u32 s9, s9, s0
	s_addc_u32 s10, s10, s1
	s_mul_i32 s0, s43, s8
	s_mul_hi_u32 s1, s42, s8
	s_add_i32 s1, s1, s0
	s_mul_i32 s0, s42, s8
	s_lshl_b64 s[0:1], s[0:1], 2
	s_add_u32 s6, s6, s0
	s_addc_u32 s7, s7, s1
	v_mul_lo_u32 v7, s25, v0
	v_mul_lo_u32 v8, s24, v1
	v_mad_u64_u32 v[0:1], s[0:1], s24, v0, 0
	v_mov_b32_e32 v4, s11
	v_add_co_u32_e32 v3, vcc, s2, v5
	v_add3_u32 v1, v1, v8, v7
	v_lshlrev_b64 v[0:1], 2, v[0:1]
	s_load_dword s0, s[4:5], 0x74
	v_addc_co_u32_e32 v4, vcc, v4, v6, vcc
	v_mov_b32_e32 v7, s10
	v_add_co_u32_e32 v0, vcc, s9, v0
	v_addc_co_u32_e32 v1, vcc, v7, v1, vcc
	v_mov_b32_e32 v7, s7
	v_add_co_u32_e32 v5, vcc, s6, v5
	v_addc_co_u32_e32 v6, vcc, v7, v6, vcc
	s_waitcnt lgkmcnt(0)
	s_lshl_b32 s2, s0, 4
	s_mov_b64 s[0:1], 0
.LBB1_2:                                ; =>This Inner Loop Header: Depth=1
	v_ashrrev_i32_e32 v9, 31, v2
	v_mul_lo_u32 v10, s17, v2
	v_mad_u64_u32 v[7:8], s[4:5], s16, v2, 0
	v_mul_lo_u32 v11, s16, v9
	global_load_dword v12, v[0:1], off
	v_mul_lo_u32 v9, s40, v9
	v_add3_u32 v8, v8, v11, v10
	v_lshlrev_b64 v[7:8], 2, v[7:8]
	v_mul_lo_u32 v11, s41, v2
	v_add_co_u32_e32 v7, vcc, v3, v7
	v_addc_co_u32_e32 v8, vcc, v4, v8, vcc
	global_load_dword v10, v[7:8], off
	v_mad_u64_u32 v[7:8], s[4:5], s40, v2, 0
	v_add_u32_e32 v2, s2, v2
	v_cmp_le_i32_e32 vcc, s3, v2
	v_add3_u32 v8, v8, v9, v11
	v_lshlrev_b64 v[7:8], 2, v[7:8]
	s_or_b64 s[0:1], vcc, s[0:1]
	v_add_co_u32_e32 v7, vcc, v5, v7
	v_addc_co_u32_e32 v8, vcc, v6, v8, vcc
	s_waitcnt vmcnt(0)
	v_mul_f32_e32 v9, v10, v12
	global_store_dword v[7:8], v9, off
	s_andn2_b64 exec, exec, s[0:1]
	s_cbranch_execnz .LBB1_2
.LBB1_3:
	s_endpgm
	.section	.rodata,"a",@progbits
	.p2align	6, 0x0
	.amdhsa_kernel _ZL19rocblas_dgmm_kernelILi16ELi16ELb0EPKfPfEviiT2_lllS3_lllT3_llli
		.amdhsa_group_segment_fixed_size 0
		.amdhsa_private_segment_fixed_size 0
		.amdhsa_kernarg_size 368
		.amdhsa_user_sgpr_count 6
		.amdhsa_user_sgpr_private_segment_buffer 1
		.amdhsa_user_sgpr_dispatch_ptr 0
		.amdhsa_user_sgpr_queue_ptr 0
		.amdhsa_user_sgpr_kernarg_segment_ptr 1
		.amdhsa_user_sgpr_dispatch_id 0
		.amdhsa_user_sgpr_flat_scratch_init 0
		.amdhsa_user_sgpr_private_segment_size 0
		.amdhsa_uses_dynamic_stack 0
		.amdhsa_system_sgpr_private_segment_wavefront_offset 0
		.amdhsa_system_sgpr_workgroup_id_x 1
		.amdhsa_system_sgpr_workgroup_id_y 1
		.amdhsa_system_sgpr_workgroup_id_z 1
		.amdhsa_system_sgpr_workgroup_info 0
		.amdhsa_system_vgpr_workitem_id 1
		.amdhsa_next_free_vgpr 13
		.amdhsa_next_free_sgpr 44
		.amdhsa_reserve_vcc 1
		.amdhsa_reserve_flat_scratch 0
		.amdhsa_float_round_mode_32 0
		.amdhsa_float_round_mode_16_64 0
		.amdhsa_float_denorm_mode_32 3
		.amdhsa_float_denorm_mode_16_64 3
		.amdhsa_dx10_clamp 1
		.amdhsa_ieee_mode 1
		.amdhsa_fp16_overflow 0
		.amdhsa_exception_fp_ieee_invalid_op 0
		.amdhsa_exception_fp_denorm_src 0
		.amdhsa_exception_fp_ieee_div_zero 0
		.amdhsa_exception_fp_ieee_overflow 0
		.amdhsa_exception_fp_ieee_underflow 0
		.amdhsa_exception_fp_ieee_inexact 0
		.amdhsa_exception_int_div_zero 0
	.end_amdhsa_kernel
	.section	.text._ZL19rocblas_dgmm_kernelILi16ELi16ELb0EPKfPfEviiT2_lllS3_lllT3_llli,"axG",@progbits,_ZL19rocblas_dgmm_kernelILi16ELi16ELb0EPKfPfEviiT2_lllS3_lllT3_llli,comdat
.Lfunc_end1:
	.size	_ZL19rocblas_dgmm_kernelILi16ELi16ELb0EPKfPfEviiT2_lllS3_lllT3_llli, .Lfunc_end1-_ZL19rocblas_dgmm_kernelILi16ELi16ELb0EPKfPfEviiT2_lllS3_lllT3_llli
                                        ; -- End function
	.set _ZL19rocblas_dgmm_kernelILi16ELi16ELb0EPKfPfEviiT2_lllS3_lllT3_llli.num_vgpr, 13
	.set _ZL19rocblas_dgmm_kernelILi16ELi16ELb0EPKfPfEviiT2_lllS3_lllT3_llli.num_agpr, 0
	.set _ZL19rocblas_dgmm_kernelILi16ELi16ELb0EPKfPfEviiT2_lllS3_lllT3_llli.numbered_sgpr, 44
	.set _ZL19rocblas_dgmm_kernelILi16ELi16ELb0EPKfPfEviiT2_lllS3_lllT3_llli.num_named_barrier, 0
	.set _ZL19rocblas_dgmm_kernelILi16ELi16ELb0EPKfPfEviiT2_lllS3_lllT3_llli.private_seg_size, 0
	.set _ZL19rocblas_dgmm_kernelILi16ELi16ELb0EPKfPfEviiT2_lllS3_lllT3_llli.uses_vcc, 1
	.set _ZL19rocblas_dgmm_kernelILi16ELi16ELb0EPKfPfEviiT2_lllS3_lllT3_llli.uses_flat_scratch, 0
	.set _ZL19rocblas_dgmm_kernelILi16ELi16ELb0EPKfPfEviiT2_lllS3_lllT3_llli.has_dyn_sized_stack, 0
	.set _ZL19rocblas_dgmm_kernelILi16ELi16ELb0EPKfPfEviiT2_lllS3_lllT3_llli.has_recursion, 0
	.set _ZL19rocblas_dgmm_kernelILi16ELi16ELb0EPKfPfEviiT2_lllS3_lllT3_llli.has_indirect_call, 0
	.section	.AMDGPU.csdata,"",@progbits
; Kernel info:
; codeLenInByte = 456
; TotalNumSgprs: 48
; NumVgprs: 13
; ScratchSize: 0
; MemoryBound: 0
; FloatMode: 240
; IeeeMode: 1
; LDSByteSize: 0 bytes/workgroup (compile time only)
; SGPRBlocks: 5
; VGPRBlocks: 3
; NumSGPRsForWavesPerEU: 48
; NumVGPRsForWavesPerEU: 13
; Occupancy: 10
; WaveLimiterHint : 0
; COMPUTE_PGM_RSRC2:SCRATCH_EN: 0
; COMPUTE_PGM_RSRC2:USER_SGPR: 6
; COMPUTE_PGM_RSRC2:TRAP_HANDLER: 0
; COMPUTE_PGM_RSRC2:TGID_X_EN: 1
; COMPUTE_PGM_RSRC2:TGID_Y_EN: 1
; COMPUTE_PGM_RSRC2:TGID_Z_EN: 1
; COMPUTE_PGM_RSRC2:TIDIG_COMP_CNT: 1
	.section	.text._ZL26rocblas_dgmm_gfx942_kernelILi32ELi32ELb1EPKfPfEviiT2_lllS3_lllT3_lll,"axG",@progbits,_ZL26rocblas_dgmm_gfx942_kernelILi32ELi32ELb1EPKfPfEviiT2_lllS3_lllT3_lll,comdat
	.globl	_ZL26rocblas_dgmm_gfx942_kernelILi32ELi32ELb1EPKfPfEviiT2_lllS3_lllT3_lll ; -- Begin function _ZL26rocblas_dgmm_gfx942_kernelILi32ELi32ELb1EPKfPfEviiT2_lllS3_lllT3_lll
	.p2align	8
	.type	_ZL26rocblas_dgmm_gfx942_kernelILi32ELi32ELb1EPKfPfEviiT2_lllS3_lllT3_lll,@function
_ZL26rocblas_dgmm_gfx942_kernelILi32ELi32ELb1EPKfPfEviiT2_lllS3_lllT3_lll: ; @_ZL26rocblas_dgmm_gfx942_kernelILi32ELi32ELb1EPKfPfEviiT2_lllS3_lllT3_lll
; %bb.0:
	s_endpgm
	.section	.rodata,"a",@progbits
	.p2align	6, 0x0
	.amdhsa_kernel _ZL26rocblas_dgmm_gfx942_kernelILi32ELi32ELb1EPKfPfEviiT2_lllS3_lllT3_lll
		.amdhsa_group_segment_fixed_size 0
		.amdhsa_private_segment_fixed_size 0
		.amdhsa_kernarg_size 104
		.amdhsa_user_sgpr_count 6
		.amdhsa_user_sgpr_private_segment_buffer 1
		.amdhsa_user_sgpr_dispatch_ptr 0
		.amdhsa_user_sgpr_queue_ptr 0
		.amdhsa_user_sgpr_kernarg_segment_ptr 1
		.amdhsa_user_sgpr_dispatch_id 0
		.amdhsa_user_sgpr_flat_scratch_init 0
		.amdhsa_user_sgpr_private_segment_size 0
		.amdhsa_uses_dynamic_stack 0
		.amdhsa_system_sgpr_private_segment_wavefront_offset 0
		.amdhsa_system_sgpr_workgroup_id_x 1
		.amdhsa_system_sgpr_workgroup_id_y 0
		.amdhsa_system_sgpr_workgroup_id_z 0
		.amdhsa_system_sgpr_workgroup_info 0
		.amdhsa_system_vgpr_workitem_id 0
		.amdhsa_next_free_vgpr 1
		.amdhsa_next_free_sgpr 0
		.amdhsa_reserve_vcc 0
		.amdhsa_reserve_flat_scratch 0
		.amdhsa_float_round_mode_32 0
		.amdhsa_float_round_mode_16_64 0
		.amdhsa_float_denorm_mode_32 3
		.amdhsa_float_denorm_mode_16_64 3
		.amdhsa_dx10_clamp 1
		.amdhsa_ieee_mode 1
		.amdhsa_fp16_overflow 0
		.amdhsa_exception_fp_ieee_invalid_op 0
		.amdhsa_exception_fp_denorm_src 0
		.amdhsa_exception_fp_ieee_div_zero 0
		.amdhsa_exception_fp_ieee_overflow 0
		.amdhsa_exception_fp_ieee_underflow 0
		.amdhsa_exception_fp_ieee_inexact 0
		.amdhsa_exception_int_div_zero 0
	.end_amdhsa_kernel
	.section	.text._ZL26rocblas_dgmm_gfx942_kernelILi32ELi32ELb1EPKfPfEviiT2_lllS3_lllT3_lll,"axG",@progbits,_ZL26rocblas_dgmm_gfx942_kernelILi32ELi32ELb1EPKfPfEviiT2_lllS3_lllT3_lll,comdat
.Lfunc_end2:
	.size	_ZL26rocblas_dgmm_gfx942_kernelILi32ELi32ELb1EPKfPfEviiT2_lllS3_lllT3_lll, .Lfunc_end2-_ZL26rocblas_dgmm_gfx942_kernelILi32ELi32ELb1EPKfPfEviiT2_lllS3_lllT3_lll
                                        ; -- End function
	.set _ZL26rocblas_dgmm_gfx942_kernelILi32ELi32ELb1EPKfPfEviiT2_lllS3_lllT3_lll.num_vgpr, 0
	.set _ZL26rocblas_dgmm_gfx942_kernelILi32ELi32ELb1EPKfPfEviiT2_lllS3_lllT3_lll.num_agpr, 0
	.set _ZL26rocblas_dgmm_gfx942_kernelILi32ELi32ELb1EPKfPfEviiT2_lllS3_lllT3_lll.numbered_sgpr, 0
	.set _ZL26rocblas_dgmm_gfx942_kernelILi32ELi32ELb1EPKfPfEviiT2_lllS3_lllT3_lll.num_named_barrier, 0
	.set _ZL26rocblas_dgmm_gfx942_kernelILi32ELi32ELb1EPKfPfEviiT2_lllS3_lllT3_lll.private_seg_size, 0
	.set _ZL26rocblas_dgmm_gfx942_kernelILi32ELi32ELb1EPKfPfEviiT2_lllS3_lllT3_lll.uses_vcc, 0
	.set _ZL26rocblas_dgmm_gfx942_kernelILi32ELi32ELb1EPKfPfEviiT2_lllS3_lllT3_lll.uses_flat_scratch, 0
	.set _ZL26rocblas_dgmm_gfx942_kernelILi32ELi32ELb1EPKfPfEviiT2_lllS3_lllT3_lll.has_dyn_sized_stack, 0
	.set _ZL26rocblas_dgmm_gfx942_kernelILi32ELi32ELb1EPKfPfEviiT2_lllS3_lllT3_lll.has_recursion, 0
	.set _ZL26rocblas_dgmm_gfx942_kernelILi32ELi32ELb1EPKfPfEviiT2_lllS3_lllT3_lll.has_indirect_call, 0
	.section	.AMDGPU.csdata,"",@progbits
; Kernel info:
; codeLenInByte = 4
; TotalNumSgprs: 4
; NumVgprs: 0
; ScratchSize: 0
; MemoryBound: 0
; FloatMode: 240
; IeeeMode: 1
; LDSByteSize: 0 bytes/workgroup (compile time only)
; SGPRBlocks: 0
; VGPRBlocks: 0
; NumSGPRsForWavesPerEU: 4
; NumVGPRsForWavesPerEU: 1
; Occupancy: 10
; WaveLimiterHint : 0
; COMPUTE_PGM_RSRC2:SCRATCH_EN: 0
; COMPUTE_PGM_RSRC2:USER_SGPR: 6
; COMPUTE_PGM_RSRC2:TRAP_HANDLER: 0
; COMPUTE_PGM_RSRC2:TGID_X_EN: 1
; COMPUTE_PGM_RSRC2:TGID_Y_EN: 0
; COMPUTE_PGM_RSRC2:TGID_Z_EN: 0
; COMPUTE_PGM_RSRC2:TIDIG_COMP_CNT: 0
	.section	.text._ZL19rocblas_dgmm_kernelILi16ELi16ELb1EPKfPfEviiT2_lllS3_lllT3_llli,"axG",@progbits,_ZL19rocblas_dgmm_kernelILi16ELi16ELb1EPKfPfEviiT2_lllS3_lllT3_llli,comdat
	.globl	_ZL19rocblas_dgmm_kernelILi16ELi16ELb1EPKfPfEviiT2_lllS3_lllT3_llli ; -- Begin function _ZL19rocblas_dgmm_kernelILi16ELi16ELb1EPKfPfEviiT2_lllS3_lllT3_llli
	.p2align	8
	.type	_ZL19rocblas_dgmm_kernelILi16ELi16ELb1EPKfPfEviiT2_lllS3_lllT3_llli,@function
_ZL19rocblas_dgmm_kernelILi16ELi16ELb1EPKfPfEviiT2_lllS3_lllT3_llli: ; @_ZL19rocblas_dgmm_kernelILi16ELi16ELb1EPKfPfEviiT2_lllS3_lllT3_llli
; %bb.0:
	s_load_dwordx2 s[2:3], s[4:5], 0x0
	v_lshl_add_u32 v0, s6, 4, v0
	v_lshl_add_u32 v2, s7, 4, v1
	s_waitcnt lgkmcnt(0)
	v_cmp_gt_i32_e32 vcc, s2, v0
	v_cmp_gt_i32_e64 s[0:1], s3, v2
	s_and_b64 s[0:1], vcc, s[0:1]
	s_and_saveexec_b64 s[6:7], s[0:1]
	s_cbranch_execz .LBB3_3
; %bb.1:
	s_load_dwordx8 s[36:43], s[4:5], 0x48
	s_load_dwordx16 s[12:27], s[4:5], 0x8
	v_ashrrev_i32_e32 v1, 31, v0
	v_lshlrev_b64 v[3:4], 2, v[0:1]
	s_waitcnt lgkmcnt(0)
	s_lshl_b64 s[0:1], s[38:39], 2
	s_add_u32 s6, s36, s0
	s_addc_u32 s7, s37, s1
	s_lshl_b64 s[0:1], s[22:23], 2
	s_add_u32 s9, s20, s0
	s_addc_u32 s10, s21, s1
	s_lshl_b64 s[0:1], s[14:15], 2
	s_mul_i32 s2, s19, s8
	s_add_u32 s11, s12, s0
	s_mul_hi_u32 s0, s18, s8
	s_addc_u32 s12, s13, s1
	s_add_i32 s1, s0, s2
	s_mul_i32 s0, s18, s8
	s_lshl_b64 s[0:1], s[0:1], 2
	s_add_u32 s11, s11, s0
	s_addc_u32 s12, s12, s1
	s_mul_i32 s0, s27, s8
	s_mul_hi_u32 s1, s26, s8
	s_add_i32 s1, s1, s0
	s_mul_i32 s0, s26, s8
	s_lshl_b64 s[0:1], s[0:1], 2
	s_add_u32 s2, s9, s0
	s_addc_u32 s9, s10, s1
	s_mul_i32 s0, s43, s8
	s_mul_hi_u32 s1, s42, s8
	s_add_i32 s1, s1, s0
	s_mul_i32 s0, s42, s8
	s_lshl_b64 s[0:1], s[0:1], 2
	s_add_u32 s0, s6, s0
	s_addc_u32 s1, s7, s1
	v_mov_b32_e32 v5, s1
	s_load_dword s1, s[4:5], 0x74
	v_mov_b32_e32 v1, s12
	v_add_co_u32_e32 v0, vcc, s11, v3
	v_addc_co_u32_e32 v1, vcc, v1, v4, vcc
	v_add_co_u32_e32 v3, vcc, s0, v3
	v_addc_co_u32_e32 v4, vcc, v5, v4, vcc
	s_waitcnt lgkmcnt(0)
	s_lshl_b32 s4, s1, 4
	s_mov_b64 s[0:1], 0
	v_mov_b32_e32 v5, s9
.LBB3_2:                                ; =>This Inner Loop Header: Depth=1
	v_ashrrev_i32_e32 v10, 31, v2
	v_mul_lo_u32 v11, s17, v2
	v_mad_u64_u32 v[6:7], s[6:7], s16, v2, 0
	v_mul_lo_u32 v13, s16, v10
	v_mul_lo_u32 v12, s25, v2
	v_mad_u64_u32 v[8:9], s[6:7], s24, v2, 0
	v_mul_lo_u32 v14, s24, v10
	v_add3_u32 v7, v7, v13, v11
	v_lshlrev_b64 v[6:7], 2, v[6:7]
	v_add3_u32 v9, v9, v14, v12
	v_lshlrev_b64 v[8:9], 2, v[8:9]
	v_add_co_u32_e32 v6, vcc, v0, v6
	v_addc_co_u32_e32 v7, vcc, v1, v7, vcc
	v_add_co_u32_e32 v8, vcc, s2, v8
	v_addc_co_u32_e32 v9, vcc, v5, v9, vcc
	global_load_dword v11, v[6:7], off
	global_load_dword v12, v[8:9], off
	v_mul_lo_u32 v8, s41, v2
	v_mad_u64_u32 v[6:7], s[6:7], s40, v2, 0
	v_mul_lo_u32 v9, s40, v10
	v_add_u32_e32 v2, s4, v2
	v_cmp_le_i32_e32 vcc, s3, v2
	s_or_b64 s[0:1], vcc, s[0:1]
	v_add3_u32 v7, v7, v9, v8
	v_lshlrev_b64 v[6:7], 2, v[6:7]
	v_add_co_u32_e32 v6, vcc, v3, v6
	v_addc_co_u32_e32 v7, vcc, v4, v7, vcc
	s_waitcnt vmcnt(0)
	v_mul_f32_e32 v8, v11, v12
	global_store_dword v[6:7], v8, off
	s_andn2_b64 exec, exec, s[0:1]
	s_cbranch_execnz .LBB3_2
.LBB3_3:
	s_endpgm
	.section	.rodata,"a",@progbits
	.p2align	6, 0x0
	.amdhsa_kernel _ZL19rocblas_dgmm_kernelILi16ELi16ELb1EPKfPfEviiT2_lllS3_lllT3_llli
		.amdhsa_group_segment_fixed_size 0
		.amdhsa_private_segment_fixed_size 0
		.amdhsa_kernarg_size 368
		.amdhsa_user_sgpr_count 6
		.amdhsa_user_sgpr_private_segment_buffer 1
		.amdhsa_user_sgpr_dispatch_ptr 0
		.amdhsa_user_sgpr_queue_ptr 0
		.amdhsa_user_sgpr_kernarg_segment_ptr 1
		.amdhsa_user_sgpr_dispatch_id 0
		.amdhsa_user_sgpr_flat_scratch_init 0
		.amdhsa_user_sgpr_private_segment_size 0
		.amdhsa_uses_dynamic_stack 0
		.amdhsa_system_sgpr_private_segment_wavefront_offset 0
		.amdhsa_system_sgpr_workgroup_id_x 1
		.amdhsa_system_sgpr_workgroup_id_y 1
		.amdhsa_system_sgpr_workgroup_id_z 1
		.amdhsa_system_sgpr_workgroup_info 0
		.amdhsa_system_vgpr_workitem_id 1
		.amdhsa_next_free_vgpr 15
		.amdhsa_next_free_sgpr 44
		.amdhsa_reserve_vcc 1
		.amdhsa_reserve_flat_scratch 0
		.amdhsa_float_round_mode_32 0
		.amdhsa_float_round_mode_16_64 0
		.amdhsa_float_denorm_mode_32 3
		.amdhsa_float_denorm_mode_16_64 3
		.amdhsa_dx10_clamp 1
		.amdhsa_ieee_mode 1
		.amdhsa_fp16_overflow 0
		.amdhsa_exception_fp_ieee_invalid_op 0
		.amdhsa_exception_fp_denorm_src 0
		.amdhsa_exception_fp_ieee_div_zero 0
		.amdhsa_exception_fp_ieee_overflow 0
		.amdhsa_exception_fp_ieee_underflow 0
		.amdhsa_exception_fp_ieee_inexact 0
		.amdhsa_exception_int_div_zero 0
	.end_amdhsa_kernel
	.section	.text._ZL19rocblas_dgmm_kernelILi16ELi16ELb1EPKfPfEviiT2_lllS3_lllT3_llli,"axG",@progbits,_ZL19rocblas_dgmm_kernelILi16ELi16ELb1EPKfPfEviiT2_lllS3_lllT3_llli,comdat
.Lfunc_end3:
	.size	_ZL19rocblas_dgmm_kernelILi16ELi16ELb1EPKfPfEviiT2_lllS3_lllT3_llli, .Lfunc_end3-_ZL19rocblas_dgmm_kernelILi16ELi16ELb1EPKfPfEviiT2_lllS3_lllT3_llli
                                        ; -- End function
	.set _ZL19rocblas_dgmm_kernelILi16ELi16ELb1EPKfPfEviiT2_lllS3_lllT3_llli.num_vgpr, 15
	.set _ZL19rocblas_dgmm_kernelILi16ELi16ELb1EPKfPfEviiT2_lllS3_lllT3_llli.num_agpr, 0
	.set _ZL19rocblas_dgmm_kernelILi16ELi16ELb1EPKfPfEviiT2_lllS3_lllT3_llli.numbered_sgpr, 44
	.set _ZL19rocblas_dgmm_kernelILi16ELi16ELb1EPKfPfEviiT2_lllS3_lllT3_llli.num_named_barrier, 0
	.set _ZL19rocblas_dgmm_kernelILi16ELi16ELb1EPKfPfEviiT2_lllS3_lllT3_llli.private_seg_size, 0
	.set _ZL19rocblas_dgmm_kernelILi16ELi16ELb1EPKfPfEviiT2_lllS3_lllT3_llli.uses_vcc, 1
	.set _ZL19rocblas_dgmm_kernelILi16ELi16ELb1EPKfPfEviiT2_lllS3_lllT3_llli.uses_flat_scratch, 0
	.set _ZL19rocblas_dgmm_kernelILi16ELi16ELb1EPKfPfEviiT2_lllS3_lllT3_llli.has_dyn_sized_stack, 0
	.set _ZL19rocblas_dgmm_kernelILi16ELi16ELb1EPKfPfEviiT2_lllS3_lllT3_llli.has_recursion, 0
	.set _ZL19rocblas_dgmm_kernelILi16ELi16ELb1EPKfPfEviiT2_lllS3_lllT3_llli.has_indirect_call, 0
	.section	.AMDGPU.csdata,"",@progbits
; Kernel info:
; codeLenInByte = 456
; TotalNumSgprs: 48
; NumVgprs: 15
; ScratchSize: 0
; MemoryBound: 0
; FloatMode: 240
; IeeeMode: 1
; LDSByteSize: 0 bytes/workgroup (compile time only)
; SGPRBlocks: 5
; VGPRBlocks: 3
; NumSGPRsForWavesPerEU: 48
; NumVGPRsForWavesPerEU: 15
; Occupancy: 10
; WaveLimiterHint : 0
; COMPUTE_PGM_RSRC2:SCRATCH_EN: 0
; COMPUTE_PGM_RSRC2:USER_SGPR: 6
; COMPUTE_PGM_RSRC2:TRAP_HANDLER: 0
; COMPUTE_PGM_RSRC2:TGID_X_EN: 1
; COMPUTE_PGM_RSRC2:TGID_Y_EN: 1
; COMPUTE_PGM_RSRC2:TGID_Z_EN: 1
; COMPUTE_PGM_RSRC2:TIDIG_COMP_CNT: 1
	.section	.text._ZL26rocblas_dgmm_gfx942_kernelILi32ELi32ELb0EPKdPdEviiT2_lllS3_lllT3_lll,"axG",@progbits,_ZL26rocblas_dgmm_gfx942_kernelILi32ELi32ELb0EPKdPdEviiT2_lllS3_lllT3_lll,comdat
	.globl	_ZL26rocblas_dgmm_gfx942_kernelILi32ELi32ELb0EPKdPdEviiT2_lllS3_lllT3_lll ; -- Begin function _ZL26rocblas_dgmm_gfx942_kernelILi32ELi32ELb0EPKdPdEviiT2_lllS3_lllT3_lll
	.p2align	8
	.type	_ZL26rocblas_dgmm_gfx942_kernelILi32ELi32ELb0EPKdPdEviiT2_lllS3_lllT3_lll,@function
_ZL26rocblas_dgmm_gfx942_kernelILi32ELi32ELb0EPKdPdEviiT2_lllS3_lllT3_lll: ; @_ZL26rocblas_dgmm_gfx942_kernelILi32ELi32ELb0EPKdPdEviiT2_lllS3_lllT3_lll
; %bb.0:
	s_endpgm
	.section	.rodata,"a",@progbits
	.p2align	6, 0x0
	.amdhsa_kernel _ZL26rocblas_dgmm_gfx942_kernelILi32ELi32ELb0EPKdPdEviiT2_lllS3_lllT3_lll
		.amdhsa_group_segment_fixed_size 0
		.amdhsa_private_segment_fixed_size 0
		.amdhsa_kernarg_size 104
		.amdhsa_user_sgpr_count 6
		.amdhsa_user_sgpr_private_segment_buffer 1
		.amdhsa_user_sgpr_dispatch_ptr 0
		.amdhsa_user_sgpr_queue_ptr 0
		.amdhsa_user_sgpr_kernarg_segment_ptr 1
		.amdhsa_user_sgpr_dispatch_id 0
		.amdhsa_user_sgpr_flat_scratch_init 0
		.amdhsa_user_sgpr_private_segment_size 0
		.amdhsa_uses_dynamic_stack 0
		.amdhsa_system_sgpr_private_segment_wavefront_offset 0
		.amdhsa_system_sgpr_workgroup_id_x 1
		.amdhsa_system_sgpr_workgroup_id_y 0
		.amdhsa_system_sgpr_workgroup_id_z 0
		.amdhsa_system_sgpr_workgroup_info 0
		.amdhsa_system_vgpr_workitem_id 0
		.amdhsa_next_free_vgpr 1
		.amdhsa_next_free_sgpr 0
		.amdhsa_reserve_vcc 0
		.amdhsa_reserve_flat_scratch 0
		.amdhsa_float_round_mode_32 0
		.amdhsa_float_round_mode_16_64 0
		.amdhsa_float_denorm_mode_32 3
		.amdhsa_float_denorm_mode_16_64 3
		.amdhsa_dx10_clamp 1
		.amdhsa_ieee_mode 1
		.amdhsa_fp16_overflow 0
		.amdhsa_exception_fp_ieee_invalid_op 0
		.amdhsa_exception_fp_denorm_src 0
		.amdhsa_exception_fp_ieee_div_zero 0
		.amdhsa_exception_fp_ieee_overflow 0
		.amdhsa_exception_fp_ieee_underflow 0
		.amdhsa_exception_fp_ieee_inexact 0
		.amdhsa_exception_int_div_zero 0
	.end_amdhsa_kernel
	.section	.text._ZL26rocblas_dgmm_gfx942_kernelILi32ELi32ELb0EPKdPdEviiT2_lllS3_lllT3_lll,"axG",@progbits,_ZL26rocblas_dgmm_gfx942_kernelILi32ELi32ELb0EPKdPdEviiT2_lllS3_lllT3_lll,comdat
.Lfunc_end4:
	.size	_ZL26rocblas_dgmm_gfx942_kernelILi32ELi32ELb0EPKdPdEviiT2_lllS3_lllT3_lll, .Lfunc_end4-_ZL26rocblas_dgmm_gfx942_kernelILi32ELi32ELb0EPKdPdEviiT2_lllS3_lllT3_lll
                                        ; -- End function
	.set _ZL26rocblas_dgmm_gfx942_kernelILi32ELi32ELb0EPKdPdEviiT2_lllS3_lllT3_lll.num_vgpr, 0
	.set _ZL26rocblas_dgmm_gfx942_kernelILi32ELi32ELb0EPKdPdEviiT2_lllS3_lllT3_lll.num_agpr, 0
	.set _ZL26rocblas_dgmm_gfx942_kernelILi32ELi32ELb0EPKdPdEviiT2_lllS3_lllT3_lll.numbered_sgpr, 0
	.set _ZL26rocblas_dgmm_gfx942_kernelILi32ELi32ELb0EPKdPdEviiT2_lllS3_lllT3_lll.num_named_barrier, 0
	.set _ZL26rocblas_dgmm_gfx942_kernelILi32ELi32ELb0EPKdPdEviiT2_lllS3_lllT3_lll.private_seg_size, 0
	.set _ZL26rocblas_dgmm_gfx942_kernelILi32ELi32ELb0EPKdPdEviiT2_lllS3_lllT3_lll.uses_vcc, 0
	.set _ZL26rocblas_dgmm_gfx942_kernelILi32ELi32ELb0EPKdPdEviiT2_lllS3_lllT3_lll.uses_flat_scratch, 0
	.set _ZL26rocblas_dgmm_gfx942_kernelILi32ELi32ELb0EPKdPdEviiT2_lllS3_lllT3_lll.has_dyn_sized_stack, 0
	.set _ZL26rocblas_dgmm_gfx942_kernelILi32ELi32ELb0EPKdPdEviiT2_lllS3_lllT3_lll.has_recursion, 0
	.set _ZL26rocblas_dgmm_gfx942_kernelILi32ELi32ELb0EPKdPdEviiT2_lllS3_lllT3_lll.has_indirect_call, 0
	.section	.AMDGPU.csdata,"",@progbits
; Kernel info:
; codeLenInByte = 4
; TotalNumSgprs: 4
; NumVgprs: 0
; ScratchSize: 0
; MemoryBound: 0
; FloatMode: 240
; IeeeMode: 1
; LDSByteSize: 0 bytes/workgroup (compile time only)
; SGPRBlocks: 0
; VGPRBlocks: 0
; NumSGPRsForWavesPerEU: 4
; NumVGPRsForWavesPerEU: 1
; Occupancy: 10
; WaveLimiterHint : 0
; COMPUTE_PGM_RSRC2:SCRATCH_EN: 0
; COMPUTE_PGM_RSRC2:USER_SGPR: 6
; COMPUTE_PGM_RSRC2:TRAP_HANDLER: 0
; COMPUTE_PGM_RSRC2:TGID_X_EN: 1
; COMPUTE_PGM_RSRC2:TGID_Y_EN: 0
; COMPUTE_PGM_RSRC2:TGID_Z_EN: 0
; COMPUTE_PGM_RSRC2:TIDIG_COMP_CNT: 0
	.section	.text._ZL19rocblas_dgmm_kernelILi16ELi16ELb0EPKdPdEviiT2_lllS3_lllT3_llli,"axG",@progbits,_ZL19rocblas_dgmm_kernelILi16ELi16ELb0EPKdPdEviiT2_lllS3_lllT3_llli,comdat
	.globl	_ZL19rocblas_dgmm_kernelILi16ELi16ELb0EPKdPdEviiT2_lllS3_lllT3_llli ; -- Begin function _ZL19rocblas_dgmm_kernelILi16ELi16ELb0EPKdPdEviiT2_lllS3_lllT3_llli
	.p2align	8
	.type	_ZL19rocblas_dgmm_kernelILi16ELi16ELb0EPKdPdEviiT2_lllS3_lllT3_llli,@function
_ZL19rocblas_dgmm_kernelILi16ELi16ELb0EPKdPdEviiT2_lllS3_lllT3_llli: ; @_ZL19rocblas_dgmm_kernelILi16ELi16ELb0EPKdPdEviiT2_lllS3_lllT3_llli
; %bb.0:
	s_load_dwordx2 s[2:3], s[4:5], 0x0
	v_lshl_add_u32 v0, s6, 4, v0
	v_lshl_add_u32 v2, s7, 4, v1
	s_waitcnt lgkmcnt(0)
	v_cmp_gt_i32_e32 vcc, s2, v0
	v_cmp_gt_i32_e64 s[0:1], s3, v2
	s_and_b64 s[0:1], vcc, s[0:1]
	s_and_saveexec_b64 s[6:7], s[0:1]
	s_cbranch_execz .LBB5_3
; %bb.1:
	s_load_dwordx8 s[36:43], s[4:5], 0x48
	s_load_dwordx16 s[12:27], s[4:5], 0x8
	v_ashrrev_i32_e32 v1, 31, v0
	v_lshlrev_b64 v[5:6], 3, v[0:1]
	s_waitcnt lgkmcnt(0)
	s_lshl_b64 s[0:1], s[38:39], 3
	s_add_u32 s6, s36, s0
	s_addc_u32 s7, s37, s1
	s_lshl_b64 s[0:1], s[22:23], 3
	s_add_u32 s9, s20, s0
	s_addc_u32 s10, s21, s1
	s_lshl_b64 s[0:1], s[14:15], 3
	s_mul_i32 s2, s19, s8
	s_add_u32 s11, s12, s0
	s_mul_hi_u32 s0, s18, s8
	s_addc_u32 s12, s13, s1
	s_add_i32 s1, s0, s2
	s_mul_i32 s0, s18, s8
	s_lshl_b64 s[0:1], s[0:1], 3
	s_add_u32 s2, s11, s0
	s_addc_u32 s11, s12, s1
	s_mul_i32 s0, s27, s8
	s_mul_hi_u32 s1, s26, s8
	s_add_i32 s1, s1, s0
	s_mul_i32 s0, s26, s8
	s_lshl_b64 s[0:1], s[0:1], 3
	s_add_u32 s9, s9, s0
	s_addc_u32 s10, s10, s1
	s_mul_i32 s0, s43, s8
	s_mul_hi_u32 s1, s42, s8
	s_add_i32 s1, s1, s0
	s_mul_i32 s0, s42, s8
	s_lshl_b64 s[0:1], s[0:1], 3
	s_add_u32 s6, s6, s0
	s_addc_u32 s7, s7, s1
	v_mul_lo_u32 v7, s25, v0
	v_mul_lo_u32 v8, s24, v1
	v_mad_u64_u32 v[0:1], s[0:1], s24, v0, 0
	v_mov_b32_e32 v4, s11
	v_add_co_u32_e32 v3, vcc, s2, v5
	v_add3_u32 v1, v1, v8, v7
	v_lshlrev_b64 v[0:1], 3, v[0:1]
	s_load_dword s0, s[4:5], 0x74
	v_addc_co_u32_e32 v4, vcc, v4, v6, vcc
	v_mov_b32_e32 v7, s10
	v_add_co_u32_e32 v0, vcc, s9, v0
	v_addc_co_u32_e32 v1, vcc, v7, v1, vcc
	v_mov_b32_e32 v7, s7
	v_add_co_u32_e32 v5, vcc, s6, v5
	v_addc_co_u32_e32 v6, vcc, v7, v6, vcc
	s_waitcnt lgkmcnt(0)
	s_lshl_b32 s2, s0, 4
	s_mov_b64 s[0:1], 0
.LBB5_2:                                ; =>This Inner Loop Header: Depth=1
	v_ashrrev_i32_e32 v13, 31, v2
	v_mul_lo_u32 v11, s17, v2
	v_mad_u64_u32 v[7:8], s[4:5], s16, v2, 0
	v_mul_lo_u32 v12, s16, v13
	global_load_dwordx2 v[9:10], v[0:1], off
	v_mul_lo_u32 v14, s41, v2
	v_mul_lo_u32 v13, s40, v13
	v_add3_u32 v8, v8, v12, v11
	v_lshlrev_b64 v[7:8], 3, v[7:8]
	v_mad_u64_u32 v[11:12], s[4:5], s40, v2, 0
	v_add_co_u32_e32 v7, vcc, v3, v7
	v_addc_co_u32_e32 v8, vcc, v4, v8, vcc
	global_load_dwordx2 v[7:8], v[7:8], off
	v_add3_u32 v12, v12, v13, v14
	v_add_u32_e32 v2, s2, v2
	v_cmp_le_i32_e32 vcc, s3, v2
	s_or_b64 s[0:1], vcc, s[0:1]
	s_waitcnt vmcnt(0)
	v_mul_f64 v[7:8], v[7:8], v[9:10]
	v_lshlrev_b64 v[9:10], 3, v[11:12]
	v_add_co_u32_e32 v9, vcc, v5, v9
	v_addc_co_u32_e32 v10, vcc, v6, v10, vcc
	global_store_dwordx2 v[9:10], v[7:8], off
	s_andn2_b64 exec, exec, s[0:1]
	s_cbranch_execnz .LBB5_2
.LBB5_3:
	s_endpgm
	.section	.rodata,"a",@progbits
	.p2align	6, 0x0
	.amdhsa_kernel _ZL19rocblas_dgmm_kernelILi16ELi16ELb0EPKdPdEviiT2_lllS3_lllT3_llli
		.amdhsa_group_segment_fixed_size 0
		.amdhsa_private_segment_fixed_size 0
		.amdhsa_kernarg_size 368
		.amdhsa_user_sgpr_count 6
		.amdhsa_user_sgpr_private_segment_buffer 1
		.amdhsa_user_sgpr_dispatch_ptr 0
		.amdhsa_user_sgpr_queue_ptr 0
		.amdhsa_user_sgpr_kernarg_segment_ptr 1
		.amdhsa_user_sgpr_dispatch_id 0
		.amdhsa_user_sgpr_flat_scratch_init 0
		.amdhsa_user_sgpr_private_segment_size 0
		.amdhsa_uses_dynamic_stack 0
		.amdhsa_system_sgpr_private_segment_wavefront_offset 0
		.amdhsa_system_sgpr_workgroup_id_x 1
		.amdhsa_system_sgpr_workgroup_id_y 1
		.amdhsa_system_sgpr_workgroup_id_z 1
		.amdhsa_system_sgpr_workgroup_info 0
		.amdhsa_system_vgpr_workitem_id 1
		.amdhsa_next_free_vgpr 15
		.amdhsa_next_free_sgpr 44
		.amdhsa_reserve_vcc 1
		.amdhsa_reserve_flat_scratch 0
		.amdhsa_float_round_mode_32 0
		.amdhsa_float_round_mode_16_64 0
		.amdhsa_float_denorm_mode_32 3
		.amdhsa_float_denorm_mode_16_64 3
		.amdhsa_dx10_clamp 1
		.amdhsa_ieee_mode 1
		.amdhsa_fp16_overflow 0
		.amdhsa_exception_fp_ieee_invalid_op 0
		.amdhsa_exception_fp_denorm_src 0
		.amdhsa_exception_fp_ieee_div_zero 0
		.amdhsa_exception_fp_ieee_overflow 0
		.amdhsa_exception_fp_ieee_underflow 0
		.amdhsa_exception_fp_ieee_inexact 0
		.amdhsa_exception_int_div_zero 0
	.end_amdhsa_kernel
	.section	.text._ZL19rocblas_dgmm_kernelILi16ELi16ELb0EPKdPdEviiT2_lllS3_lllT3_llli,"axG",@progbits,_ZL19rocblas_dgmm_kernelILi16ELi16ELb0EPKdPdEviiT2_lllS3_lllT3_llli,comdat
.Lfunc_end5:
	.size	_ZL19rocblas_dgmm_kernelILi16ELi16ELb0EPKdPdEviiT2_lllS3_lllT3_llli, .Lfunc_end5-_ZL19rocblas_dgmm_kernelILi16ELi16ELb0EPKdPdEviiT2_lllS3_lllT3_llli
                                        ; -- End function
	.set _ZL19rocblas_dgmm_kernelILi16ELi16ELb0EPKdPdEviiT2_lllS3_lllT3_llli.num_vgpr, 15
	.set _ZL19rocblas_dgmm_kernelILi16ELi16ELb0EPKdPdEviiT2_lllS3_lllT3_llli.num_agpr, 0
	.set _ZL19rocblas_dgmm_kernelILi16ELi16ELb0EPKdPdEviiT2_lllS3_lllT3_llli.numbered_sgpr, 44
	.set _ZL19rocblas_dgmm_kernelILi16ELi16ELb0EPKdPdEviiT2_lllS3_lllT3_llli.num_named_barrier, 0
	.set _ZL19rocblas_dgmm_kernelILi16ELi16ELb0EPKdPdEviiT2_lllS3_lllT3_llli.private_seg_size, 0
	.set _ZL19rocblas_dgmm_kernelILi16ELi16ELb0EPKdPdEviiT2_lllS3_lllT3_llli.uses_vcc, 1
	.set _ZL19rocblas_dgmm_kernelILi16ELi16ELb0EPKdPdEviiT2_lllS3_lllT3_llli.uses_flat_scratch, 0
	.set _ZL19rocblas_dgmm_kernelILi16ELi16ELb0EPKdPdEviiT2_lllS3_lllT3_llli.has_dyn_sized_stack, 0
	.set _ZL19rocblas_dgmm_kernelILi16ELi16ELb0EPKdPdEviiT2_lllS3_lllT3_llli.has_recursion, 0
	.set _ZL19rocblas_dgmm_kernelILi16ELi16ELb0EPKdPdEviiT2_lllS3_lllT3_llli.has_indirect_call, 0
	.section	.AMDGPU.csdata,"",@progbits
; Kernel info:
; codeLenInByte = 460
; TotalNumSgprs: 48
; NumVgprs: 15
; ScratchSize: 0
; MemoryBound: 0
; FloatMode: 240
; IeeeMode: 1
; LDSByteSize: 0 bytes/workgroup (compile time only)
; SGPRBlocks: 5
; VGPRBlocks: 3
; NumSGPRsForWavesPerEU: 48
; NumVGPRsForWavesPerEU: 15
; Occupancy: 10
; WaveLimiterHint : 0
; COMPUTE_PGM_RSRC2:SCRATCH_EN: 0
; COMPUTE_PGM_RSRC2:USER_SGPR: 6
; COMPUTE_PGM_RSRC2:TRAP_HANDLER: 0
; COMPUTE_PGM_RSRC2:TGID_X_EN: 1
; COMPUTE_PGM_RSRC2:TGID_Y_EN: 1
; COMPUTE_PGM_RSRC2:TGID_Z_EN: 1
; COMPUTE_PGM_RSRC2:TIDIG_COMP_CNT: 1
	.section	.text._ZL26rocblas_dgmm_gfx942_kernelILi32ELi32ELb1EPKdPdEviiT2_lllS3_lllT3_lll,"axG",@progbits,_ZL26rocblas_dgmm_gfx942_kernelILi32ELi32ELb1EPKdPdEviiT2_lllS3_lllT3_lll,comdat
	.globl	_ZL26rocblas_dgmm_gfx942_kernelILi32ELi32ELb1EPKdPdEviiT2_lllS3_lllT3_lll ; -- Begin function _ZL26rocblas_dgmm_gfx942_kernelILi32ELi32ELb1EPKdPdEviiT2_lllS3_lllT3_lll
	.p2align	8
	.type	_ZL26rocblas_dgmm_gfx942_kernelILi32ELi32ELb1EPKdPdEviiT2_lllS3_lllT3_lll,@function
_ZL26rocblas_dgmm_gfx942_kernelILi32ELi32ELb1EPKdPdEviiT2_lllS3_lllT3_lll: ; @_ZL26rocblas_dgmm_gfx942_kernelILi32ELi32ELb1EPKdPdEviiT2_lllS3_lllT3_lll
; %bb.0:
	s_endpgm
	.section	.rodata,"a",@progbits
	.p2align	6, 0x0
	.amdhsa_kernel _ZL26rocblas_dgmm_gfx942_kernelILi32ELi32ELb1EPKdPdEviiT2_lllS3_lllT3_lll
		.amdhsa_group_segment_fixed_size 0
		.amdhsa_private_segment_fixed_size 0
		.amdhsa_kernarg_size 104
		.amdhsa_user_sgpr_count 6
		.amdhsa_user_sgpr_private_segment_buffer 1
		.amdhsa_user_sgpr_dispatch_ptr 0
		.amdhsa_user_sgpr_queue_ptr 0
		.amdhsa_user_sgpr_kernarg_segment_ptr 1
		.amdhsa_user_sgpr_dispatch_id 0
		.amdhsa_user_sgpr_flat_scratch_init 0
		.amdhsa_user_sgpr_private_segment_size 0
		.amdhsa_uses_dynamic_stack 0
		.amdhsa_system_sgpr_private_segment_wavefront_offset 0
		.amdhsa_system_sgpr_workgroup_id_x 1
		.amdhsa_system_sgpr_workgroup_id_y 0
		.amdhsa_system_sgpr_workgroup_id_z 0
		.amdhsa_system_sgpr_workgroup_info 0
		.amdhsa_system_vgpr_workitem_id 0
		.amdhsa_next_free_vgpr 1
		.amdhsa_next_free_sgpr 0
		.amdhsa_reserve_vcc 0
		.amdhsa_reserve_flat_scratch 0
		.amdhsa_float_round_mode_32 0
		.amdhsa_float_round_mode_16_64 0
		.amdhsa_float_denorm_mode_32 3
		.amdhsa_float_denorm_mode_16_64 3
		.amdhsa_dx10_clamp 1
		.amdhsa_ieee_mode 1
		.amdhsa_fp16_overflow 0
		.amdhsa_exception_fp_ieee_invalid_op 0
		.amdhsa_exception_fp_denorm_src 0
		.amdhsa_exception_fp_ieee_div_zero 0
		.amdhsa_exception_fp_ieee_overflow 0
		.amdhsa_exception_fp_ieee_underflow 0
		.amdhsa_exception_fp_ieee_inexact 0
		.amdhsa_exception_int_div_zero 0
	.end_amdhsa_kernel
	.section	.text._ZL26rocblas_dgmm_gfx942_kernelILi32ELi32ELb1EPKdPdEviiT2_lllS3_lllT3_lll,"axG",@progbits,_ZL26rocblas_dgmm_gfx942_kernelILi32ELi32ELb1EPKdPdEviiT2_lllS3_lllT3_lll,comdat
.Lfunc_end6:
	.size	_ZL26rocblas_dgmm_gfx942_kernelILi32ELi32ELb1EPKdPdEviiT2_lllS3_lllT3_lll, .Lfunc_end6-_ZL26rocblas_dgmm_gfx942_kernelILi32ELi32ELb1EPKdPdEviiT2_lllS3_lllT3_lll
                                        ; -- End function
	.set _ZL26rocblas_dgmm_gfx942_kernelILi32ELi32ELb1EPKdPdEviiT2_lllS3_lllT3_lll.num_vgpr, 0
	.set _ZL26rocblas_dgmm_gfx942_kernelILi32ELi32ELb1EPKdPdEviiT2_lllS3_lllT3_lll.num_agpr, 0
	.set _ZL26rocblas_dgmm_gfx942_kernelILi32ELi32ELb1EPKdPdEviiT2_lllS3_lllT3_lll.numbered_sgpr, 0
	.set _ZL26rocblas_dgmm_gfx942_kernelILi32ELi32ELb1EPKdPdEviiT2_lllS3_lllT3_lll.num_named_barrier, 0
	.set _ZL26rocblas_dgmm_gfx942_kernelILi32ELi32ELb1EPKdPdEviiT2_lllS3_lllT3_lll.private_seg_size, 0
	.set _ZL26rocblas_dgmm_gfx942_kernelILi32ELi32ELb1EPKdPdEviiT2_lllS3_lllT3_lll.uses_vcc, 0
	.set _ZL26rocblas_dgmm_gfx942_kernelILi32ELi32ELb1EPKdPdEviiT2_lllS3_lllT3_lll.uses_flat_scratch, 0
	.set _ZL26rocblas_dgmm_gfx942_kernelILi32ELi32ELb1EPKdPdEviiT2_lllS3_lllT3_lll.has_dyn_sized_stack, 0
	.set _ZL26rocblas_dgmm_gfx942_kernelILi32ELi32ELb1EPKdPdEviiT2_lllS3_lllT3_lll.has_recursion, 0
	.set _ZL26rocblas_dgmm_gfx942_kernelILi32ELi32ELb1EPKdPdEviiT2_lllS3_lllT3_lll.has_indirect_call, 0
	.section	.AMDGPU.csdata,"",@progbits
; Kernel info:
; codeLenInByte = 4
; TotalNumSgprs: 4
; NumVgprs: 0
; ScratchSize: 0
; MemoryBound: 0
; FloatMode: 240
; IeeeMode: 1
; LDSByteSize: 0 bytes/workgroup (compile time only)
; SGPRBlocks: 0
; VGPRBlocks: 0
; NumSGPRsForWavesPerEU: 4
; NumVGPRsForWavesPerEU: 1
; Occupancy: 10
; WaveLimiterHint : 0
; COMPUTE_PGM_RSRC2:SCRATCH_EN: 0
; COMPUTE_PGM_RSRC2:USER_SGPR: 6
; COMPUTE_PGM_RSRC2:TRAP_HANDLER: 0
; COMPUTE_PGM_RSRC2:TGID_X_EN: 1
; COMPUTE_PGM_RSRC2:TGID_Y_EN: 0
; COMPUTE_PGM_RSRC2:TGID_Z_EN: 0
; COMPUTE_PGM_RSRC2:TIDIG_COMP_CNT: 0
	.section	.text._ZL19rocblas_dgmm_kernelILi16ELi16ELb1EPKdPdEviiT2_lllS3_lllT3_llli,"axG",@progbits,_ZL19rocblas_dgmm_kernelILi16ELi16ELb1EPKdPdEviiT2_lllS3_lllT3_llli,comdat
	.globl	_ZL19rocblas_dgmm_kernelILi16ELi16ELb1EPKdPdEviiT2_lllS3_lllT3_llli ; -- Begin function _ZL19rocblas_dgmm_kernelILi16ELi16ELb1EPKdPdEviiT2_lllS3_lllT3_llli
	.p2align	8
	.type	_ZL19rocblas_dgmm_kernelILi16ELi16ELb1EPKdPdEviiT2_lllS3_lllT3_llli,@function
_ZL19rocblas_dgmm_kernelILi16ELi16ELb1EPKdPdEviiT2_lllS3_lllT3_llli: ; @_ZL19rocblas_dgmm_kernelILi16ELi16ELb1EPKdPdEviiT2_lllS3_lllT3_llli
; %bb.0:
	s_load_dwordx2 s[2:3], s[4:5], 0x0
	v_lshl_add_u32 v0, s6, 4, v0
	v_lshl_add_u32 v2, s7, 4, v1
	s_waitcnt lgkmcnt(0)
	v_cmp_gt_i32_e32 vcc, s2, v0
	v_cmp_gt_i32_e64 s[0:1], s3, v2
	s_and_b64 s[0:1], vcc, s[0:1]
	s_and_saveexec_b64 s[6:7], s[0:1]
	s_cbranch_execz .LBB7_3
; %bb.1:
	s_load_dwordx8 s[36:43], s[4:5], 0x48
	s_load_dwordx16 s[12:27], s[4:5], 0x8
	v_ashrrev_i32_e32 v1, 31, v0
	v_lshlrev_b64 v[3:4], 3, v[0:1]
	s_waitcnt lgkmcnt(0)
	s_lshl_b64 s[0:1], s[38:39], 3
	s_add_u32 s6, s36, s0
	s_addc_u32 s7, s37, s1
	s_lshl_b64 s[0:1], s[22:23], 3
	s_add_u32 s9, s20, s0
	s_addc_u32 s10, s21, s1
	s_lshl_b64 s[0:1], s[14:15], 3
	s_mul_i32 s2, s19, s8
	s_add_u32 s11, s12, s0
	s_mul_hi_u32 s0, s18, s8
	s_addc_u32 s12, s13, s1
	s_add_i32 s1, s0, s2
	s_mul_i32 s0, s18, s8
	s_lshl_b64 s[0:1], s[0:1], 3
	s_add_u32 s11, s11, s0
	s_addc_u32 s12, s12, s1
	s_mul_i32 s0, s27, s8
	s_mul_hi_u32 s1, s26, s8
	s_add_i32 s1, s1, s0
	s_mul_i32 s0, s26, s8
	s_lshl_b64 s[0:1], s[0:1], 3
	s_add_u32 s2, s9, s0
	s_addc_u32 s9, s10, s1
	s_mul_i32 s0, s43, s8
	s_mul_hi_u32 s1, s42, s8
	s_add_i32 s1, s1, s0
	s_mul_i32 s0, s42, s8
	s_lshl_b64 s[0:1], s[0:1], 3
	s_add_u32 s0, s6, s0
	s_addc_u32 s1, s7, s1
	v_mov_b32_e32 v5, s1
	s_load_dword s1, s[4:5], 0x74
	v_mov_b32_e32 v1, s12
	v_add_co_u32_e32 v0, vcc, s11, v3
	v_addc_co_u32_e32 v1, vcc, v1, v4, vcc
	v_add_co_u32_e32 v3, vcc, s0, v3
	v_addc_co_u32_e32 v4, vcc, v5, v4, vcc
	s_waitcnt lgkmcnt(0)
	s_lshl_b32 s4, s1, 4
	s_mov_b64 s[0:1], 0
	v_mov_b32_e32 v5, s9
.LBB7_2:                                ; =>This Inner Loop Header: Depth=1
	v_ashrrev_i32_e32 v14, 31, v2
	v_mul_lo_u32 v10, s17, v2
	v_mad_u64_u32 v[6:7], s[6:7], s16, v2, 0
	v_mul_lo_u32 v12, s16, v14
	v_mul_lo_u32 v11, s25, v2
	v_mad_u64_u32 v[8:9], s[6:7], s24, v2, 0
	v_mul_lo_u32 v13, s24, v14
	v_add3_u32 v7, v7, v12, v10
	v_lshlrev_b64 v[6:7], 3, v[6:7]
	v_mul_lo_u32 v15, s41, v2
	v_add3_u32 v9, v9, v13, v11
	v_lshlrev_b64 v[8:9], 3, v[8:9]
	v_add_co_u32_e32 v6, vcc, v0, v6
	v_addc_co_u32_e32 v7, vcc, v1, v7, vcc
	v_add_co_u32_e32 v8, vcc, s2, v8
	v_addc_co_u32_e32 v9, vcc, v5, v9, vcc
	global_load_dwordx2 v[10:11], v[6:7], off
	global_load_dwordx2 v[12:13], v[8:9], off
	v_mad_u64_u32 v[6:7], s[6:7], s40, v2, 0
	v_mul_lo_u32 v14, s40, v14
	v_add_u32_e32 v2, s4, v2
	v_cmp_le_i32_e32 vcc, s3, v2
	s_or_b64 s[0:1], vcc, s[0:1]
	v_add3_u32 v7, v7, v14, v15
	v_lshlrev_b64 v[6:7], 3, v[6:7]
	v_add_co_u32_e32 v6, vcc, v3, v6
	v_addc_co_u32_e32 v7, vcc, v4, v7, vcc
	s_waitcnt vmcnt(0)
	v_mul_f64 v[8:9], v[10:11], v[12:13]
	global_store_dwordx2 v[6:7], v[8:9], off
	s_andn2_b64 exec, exec, s[0:1]
	s_cbranch_execnz .LBB7_2
.LBB7_3:
	s_endpgm
	.section	.rodata,"a",@progbits
	.p2align	6, 0x0
	.amdhsa_kernel _ZL19rocblas_dgmm_kernelILi16ELi16ELb1EPKdPdEviiT2_lllS3_lllT3_llli
		.amdhsa_group_segment_fixed_size 0
		.amdhsa_private_segment_fixed_size 0
		.amdhsa_kernarg_size 368
		.amdhsa_user_sgpr_count 6
		.amdhsa_user_sgpr_private_segment_buffer 1
		.amdhsa_user_sgpr_dispatch_ptr 0
		.amdhsa_user_sgpr_queue_ptr 0
		.amdhsa_user_sgpr_kernarg_segment_ptr 1
		.amdhsa_user_sgpr_dispatch_id 0
		.amdhsa_user_sgpr_flat_scratch_init 0
		.amdhsa_user_sgpr_private_segment_size 0
		.amdhsa_uses_dynamic_stack 0
		.amdhsa_system_sgpr_private_segment_wavefront_offset 0
		.amdhsa_system_sgpr_workgroup_id_x 1
		.amdhsa_system_sgpr_workgroup_id_y 1
		.amdhsa_system_sgpr_workgroup_id_z 1
		.amdhsa_system_sgpr_workgroup_info 0
		.amdhsa_system_vgpr_workitem_id 1
		.amdhsa_next_free_vgpr 16
		.amdhsa_next_free_sgpr 44
		.amdhsa_reserve_vcc 1
		.amdhsa_reserve_flat_scratch 0
		.amdhsa_float_round_mode_32 0
		.amdhsa_float_round_mode_16_64 0
		.amdhsa_float_denorm_mode_32 3
		.amdhsa_float_denorm_mode_16_64 3
		.amdhsa_dx10_clamp 1
		.amdhsa_ieee_mode 1
		.amdhsa_fp16_overflow 0
		.amdhsa_exception_fp_ieee_invalid_op 0
		.amdhsa_exception_fp_denorm_src 0
		.amdhsa_exception_fp_ieee_div_zero 0
		.amdhsa_exception_fp_ieee_overflow 0
		.amdhsa_exception_fp_ieee_underflow 0
		.amdhsa_exception_fp_ieee_inexact 0
		.amdhsa_exception_int_div_zero 0
	.end_amdhsa_kernel
	.section	.text._ZL19rocblas_dgmm_kernelILi16ELi16ELb1EPKdPdEviiT2_lllS3_lllT3_llli,"axG",@progbits,_ZL19rocblas_dgmm_kernelILi16ELi16ELb1EPKdPdEviiT2_lllS3_lllT3_llli,comdat
.Lfunc_end7:
	.size	_ZL19rocblas_dgmm_kernelILi16ELi16ELb1EPKdPdEviiT2_lllS3_lllT3_llli, .Lfunc_end7-_ZL19rocblas_dgmm_kernelILi16ELi16ELb1EPKdPdEviiT2_lllS3_lllT3_llli
                                        ; -- End function
	.set _ZL19rocblas_dgmm_kernelILi16ELi16ELb1EPKdPdEviiT2_lllS3_lllT3_llli.num_vgpr, 16
	.set _ZL19rocblas_dgmm_kernelILi16ELi16ELb1EPKdPdEviiT2_lllS3_lllT3_llli.num_agpr, 0
	.set _ZL19rocblas_dgmm_kernelILi16ELi16ELb1EPKdPdEviiT2_lllS3_lllT3_llli.numbered_sgpr, 44
	.set _ZL19rocblas_dgmm_kernelILi16ELi16ELb1EPKdPdEviiT2_lllS3_lllT3_llli.num_named_barrier, 0
	.set _ZL19rocblas_dgmm_kernelILi16ELi16ELb1EPKdPdEviiT2_lllS3_lllT3_llli.private_seg_size, 0
	.set _ZL19rocblas_dgmm_kernelILi16ELi16ELb1EPKdPdEviiT2_lllS3_lllT3_llli.uses_vcc, 1
	.set _ZL19rocblas_dgmm_kernelILi16ELi16ELb1EPKdPdEviiT2_lllS3_lllT3_llli.uses_flat_scratch, 0
	.set _ZL19rocblas_dgmm_kernelILi16ELi16ELb1EPKdPdEviiT2_lllS3_lllT3_llli.has_dyn_sized_stack, 0
	.set _ZL19rocblas_dgmm_kernelILi16ELi16ELb1EPKdPdEviiT2_lllS3_lllT3_llli.has_recursion, 0
	.set _ZL19rocblas_dgmm_kernelILi16ELi16ELb1EPKdPdEviiT2_lllS3_lllT3_llli.has_indirect_call, 0
	.section	.AMDGPU.csdata,"",@progbits
; Kernel info:
; codeLenInByte = 460
; TotalNumSgprs: 48
; NumVgprs: 16
; ScratchSize: 0
; MemoryBound: 0
; FloatMode: 240
; IeeeMode: 1
; LDSByteSize: 0 bytes/workgroup (compile time only)
; SGPRBlocks: 5
; VGPRBlocks: 3
; NumSGPRsForWavesPerEU: 48
; NumVGPRsForWavesPerEU: 16
; Occupancy: 10
; WaveLimiterHint : 0
; COMPUTE_PGM_RSRC2:SCRATCH_EN: 0
; COMPUTE_PGM_RSRC2:USER_SGPR: 6
; COMPUTE_PGM_RSRC2:TRAP_HANDLER: 0
; COMPUTE_PGM_RSRC2:TGID_X_EN: 1
; COMPUTE_PGM_RSRC2:TGID_Y_EN: 1
; COMPUTE_PGM_RSRC2:TGID_Z_EN: 1
; COMPUTE_PGM_RSRC2:TIDIG_COMP_CNT: 1
	.section	.text._ZL26rocblas_dgmm_gfx942_kernelILi32ELi32ELb0EPK19rocblas_complex_numIfEPS1_EviiT2_lllS5_lllT3_lll,"axG",@progbits,_ZL26rocblas_dgmm_gfx942_kernelILi32ELi32ELb0EPK19rocblas_complex_numIfEPS1_EviiT2_lllS5_lllT3_lll,comdat
	.globl	_ZL26rocblas_dgmm_gfx942_kernelILi32ELi32ELb0EPK19rocblas_complex_numIfEPS1_EviiT2_lllS5_lllT3_lll ; -- Begin function _ZL26rocblas_dgmm_gfx942_kernelILi32ELi32ELb0EPK19rocblas_complex_numIfEPS1_EviiT2_lllS5_lllT3_lll
	.p2align	8
	.type	_ZL26rocblas_dgmm_gfx942_kernelILi32ELi32ELb0EPK19rocblas_complex_numIfEPS1_EviiT2_lllS5_lllT3_lll,@function
_ZL26rocblas_dgmm_gfx942_kernelILi32ELi32ELb0EPK19rocblas_complex_numIfEPS1_EviiT2_lllS5_lllT3_lll: ; @_ZL26rocblas_dgmm_gfx942_kernelILi32ELi32ELb0EPK19rocblas_complex_numIfEPS1_EviiT2_lllS5_lllT3_lll
; %bb.0:
	s_endpgm
	.section	.rodata,"a",@progbits
	.p2align	6, 0x0
	.amdhsa_kernel _ZL26rocblas_dgmm_gfx942_kernelILi32ELi32ELb0EPK19rocblas_complex_numIfEPS1_EviiT2_lllS5_lllT3_lll
		.amdhsa_group_segment_fixed_size 0
		.amdhsa_private_segment_fixed_size 0
		.amdhsa_kernarg_size 104
		.amdhsa_user_sgpr_count 6
		.amdhsa_user_sgpr_private_segment_buffer 1
		.amdhsa_user_sgpr_dispatch_ptr 0
		.amdhsa_user_sgpr_queue_ptr 0
		.amdhsa_user_sgpr_kernarg_segment_ptr 1
		.amdhsa_user_sgpr_dispatch_id 0
		.amdhsa_user_sgpr_flat_scratch_init 0
		.amdhsa_user_sgpr_private_segment_size 0
		.amdhsa_uses_dynamic_stack 0
		.amdhsa_system_sgpr_private_segment_wavefront_offset 0
		.amdhsa_system_sgpr_workgroup_id_x 1
		.amdhsa_system_sgpr_workgroup_id_y 0
		.amdhsa_system_sgpr_workgroup_id_z 0
		.amdhsa_system_sgpr_workgroup_info 0
		.amdhsa_system_vgpr_workitem_id 0
		.amdhsa_next_free_vgpr 1
		.amdhsa_next_free_sgpr 0
		.amdhsa_reserve_vcc 0
		.amdhsa_reserve_flat_scratch 0
		.amdhsa_float_round_mode_32 0
		.amdhsa_float_round_mode_16_64 0
		.amdhsa_float_denorm_mode_32 3
		.amdhsa_float_denorm_mode_16_64 3
		.amdhsa_dx10_clamp 1
		.amdhsa_ieee_mode 1
		.amdhsa_fp16_overflow 0
		.amdhsa_exception_fp_ieee_invalid_op 0
		.amdhsa_exception_fp_denorm_src 0
		.amdhsa_exception_fp_ieee_div_zero 0
		.amdhsa_exception_fp_ieee_overflow 0
		.amdhsa_exception_fp_ieee_underflow 0
		.amdhsa_exception_fp_ieee_inexact 0
		.amdhsa_exception_int_div_zero 0
	.end_amdhsa_kernel
	.section	.text._ZL26rocblas_dgmm_gfx942_kernelILi32ELi32ELb0EPK19rocblas_complex_numIfEPS1_EviiT2_lllS5_lllT3_lll,"axG",@progbits,_ZL26rocblas_dgmm_gfx942_kernelILi32ELi32ELb0EPK19rocblas_complex_numIfEPS1_EviiT2_lllS5_lllT3_lll,comdat
.Lfunc_end8:
	.size	_ZL26rocblas_dgmm_gfx942_kernelILi32ELi32ELb0EPK19rocblas_complex_numIfEPS1_EviiT2_lllS5_lllT3_lll, .Lfunc_end8-_ZL26rocblas_dgmm_gfx942_kernelILi32ELi32ELb0EPK19rocblas_complex_numIfEPS1_EviiT2_lllS5_lllT3_lll
                                        ; -- End function
	.set _ZL26rocblas_dgmm_gfx942_kernelILi32ELi32ELb0EPK19rocblas_complex_numIfEPS1_EviiT2_lllS5_lllT3_lll.num_vgpr, 0
	.set _ZL26rocblas_dgmm_gfx942_kernelILi32ELi32ELb0EPK19rocblas_complex_numIfEPS1_EviiT2_lllS5_lllT3_lll.num_agpr, 0
	.set _ZL26rocblas_dgmm_gfx942_kernelILi32ELi32ELb0EPK19rocblas_complex_numIfEPS1_EviiT2_lllS5_lllT3_lll.numbered_sgpr, 0
	.set _ZL26rocblas_dgmm_gfx942_kernelILi32ELi32ELb0EPK19rocblas_complex_numIfEPS1_EviiT2_lllS5_lllT3_lll.num_named_barrier, 0
	.set _ZL26rocblas_dgmm_gfx942_kernelILi32ELi32ELb0EPK19rocblas_complex_numIfEPS1_EviiT2_lllS5_lllT3_lll.private_seg_size, 0
	.set _ZL26rocblas_dgmm_gfx942_kernelILi32ELi32ELb0EPK19rocblas_complex_numIfEPS1_EviiT2_lllS5_lllT3_lll.uses_vcc, 0
	.set _ZL26rocblas_dgmm_gfx942_kernelILi32ELi32ELb0EPK19rocblas_complex_numIfEPS1_EviiT2_lllS5_lllT3_lll.uses_flat_scratch, 0
	.set _ZL26rocblas_dgmm_gfx942_kernelILi32ELi32ELb0EPK19rocblas_complex_numIfEPS1_EviiT2_lllS5_lllT3_lll.has_dyn_sized_stack, 0
	.set _ZL26rocblas_dgmm_gfx942_kernelILi32ELi32ELb0EPK19rocblas_complex_numIfEPS1_EviiT2_lllS5_lllT3_lll.has_recursion, 0
	.set _ZL26rocblas_dgmm_gfx942_kernelILi32ELi32ELb0EPK19rocblas_complex_numIfEPS1_EviiT2_lllS5_lllT3_lll.has_indirect_call, 0
	.section	.AMDGPU.csdata,"",@progbits
; Kernel info:
; codeLenInByte = 4
; TotalNumSgprs: 4
; NumVgprs: 0
; ScratchSize: 0
; MemoryBound: 0
; FloatMode: 240
; IeeeMode: 1
; LDSByteSize: 0 bytes/workgroup (compile time only)
; SGPRBlocks: 0
; VGPRBlocks: 0
; NumSGPRsForWavesPerEU: 4
; NumVGPRsForWavesPerEU: 1
; Occupancy: 10
; WaveLimiterHint : 0
; COMPUTE_PGM_RSRC2:SCRATCH_EN: 0
; COMPUTE_PGM_RSRC2:USER_SGPR: 6
; COMPUTE_PGM_RSRC2:TRAP_HANDLER: 0
; COMPUTE_PGM_RSRC2:TGID_X_EN: 1
; COMPUTE_PGM_RSRC2:TGID_Y_EN: 0
; COMPUTE_PGM_RSRC2:TGID_Z_EN: 0
; COMPUTE_PGM_RSRC2:TIDIG_COMP_CNT: 0
	.section	.text._ZL19rocblas_dgmm_kernelILi16ELi16ELb0EPK19rocblas_complex_numIfEPS1_EviiT2_lllS5_lllT3_llli,"axG",@progbits,_ZL19rocblas_dgmm_kernelILi16ELi16ELb0EPK19rocblas_complex_numIfEPS1_EviiT2_lllS5_lllT3_llli,comdat
	.globl	_ZL19rocblas_dgmm_kernelILi16ELi16ELb0EPK19rocblas_complex_numIfEPS1_EviiT2_lllS5_lllT3_llli ; -- Begin function _ZL19rocblas_dgmm_kernelILi16ELi16ELb0EPK19rocblas_complex_numIfEPS1_EviiT2_lllS5_lllT3_llli
	.p2align	8
	.type	_ZL19rocblas_dgmm_kernelILi16ELi16ELb0EPK19rocblas_complex_numIfEPS1_EviiT2_lllS5_lllT3_llli,@function
_ZL19rocblas_dgmm_kernelILi16ELi16ELb0EPK19rocblas_complex_numIfEPS1_EviiT2_lllS5_lllT3_llli: ; @_ZL19rocblas_dgmm_kernelILi16ELi16ELb0EPK19rocblas_complex_numIfEPS1_EviiT2_lllS5_lllT3_llli
; %bb.0:
	s_load_dwordx2 s[2:3], s[4:5], 0x0
	v_lshl_add_u32 v0, s6, 4, v0
	v_lshl_add_u32 v2, s7, 4, v1
	s_waitcnt lgkmcnt(0)
	v_cmp_gt_i32_e32 vcc, s2, v0
	v_cmp_gt_i32_e64 s[0:1], s3, v2
	s_and_b64 s[0:1], vcc, s[0:1]
	s_and_saveexec_b64 s[6:7], s[0:1]
	s_cbranch_execz .LBB9_3
; %bb.1:
	s_load_dwordx8 s[36:43], s[4:5], 0x48
	s_load_dwordx16 s[12:27], s[4:5], 0x8
	v_ashrrev_i32_e32 v1, 31, v0
	v_lshlrev_b64 v[5:6], 3, v[0:1]
	s_waitcnt lgkmcnt(0)
	s_lshl_b64 s[0:1], s[38:39], 3
	s_add_u32 s6, s36, s0
	s_addc_u32 s7, s37, s1
	s_lshl_b64 s[0:1], s[22:23], 3
	s_add_u32 s9, s20, s0
	s_addc_u32 s10, s21, s1
	s_lshl_b64 s[0:1], s[14:15], 3
	s_mul_i32 s2, s19, s8
	s_add_u32 s11, s12, s0
	s_mul_hi_u32 s0, s18, s8
	s_addc_u32 s12, s13, s1
	s_add_i32 s1, s0, s2
	s_mul_i32 s0, s18, s8
	s_lshl_b64 s[0:1], s[0:1], 3
	s_add_u32 s2, s11, s0
	s_addc_u32 s11, s12, s1
	s_mul_i32 s0, s27, s8
	s_mul_hi_u32 s1, s26, s8
	s_add_i32 s1, s1, s0
	s_mul_i32 s0, s26, s8
	s_lshl_b64 s[0:1], s[0:1], 3
	s_add_u32 s9, s9, s0
	s_addc_u32 s10, s10, s1
	s_mul_i32 s0, s43, s8
	s_mul_hi_u32 s1, s42, s8
	s_add_i32 s1, s1, s0
	s_mul_i32 s0, s42, s8
	s_lshl_b64 s[0:1], s[0:1], 3
	s_add_u32 s6, s6, s0
	s_addc_u32 s7, s7, s1
	v_mul_lo_u32 v7, s25, v0
	v_mul_lo_u32 v8, s24, v1
	v_mad_u64_u32 v[0:1], s[0:1], s24, v0, 0
	v_mov_b32_e32 v4, s11
	v_add_co_u32_e32 v3, vcc, s2, v5
	v_add3_u32 v1, v1, v8, v7
	v_lshlrev_b64 v[0:1], 3, v[0:1]
	s_load_dword s0, s[4:5], 0x74
	v_addc_co_u32_e32 v4, vcc, v4, v6, vcc
	v_mov_b32_e32 v7, s10
	v_add_co_u32_e32 v0, vcc, s9, v0
	v_addc_co_u32_e32 v1, vcc, v7, v1, vcc
	v_mov_b32_e32 v7, s7
	v_add_co_u32_e32 v5, vcc, s6, v5
	v_addc_co_u32_e32 v6, vcc, v7, v6, vcc
	s_waitcnt lgkmcnt(0)
	s_lshl_b32 s2, s0, 4
	s_mov_b64 s[0:1], 0
.LBB9_2:                                ; =>This Inner Loop Header: Depth=1
	v_ashrrev_i32_e32 v13, 31, v2
	v_mul_lo_u32 v11, s17, v2
	v_mad_u64_u32 v[7:8], s[4:5], s16, v2, 0
	v_mul_lo_u32 v12, s16, v13
	global_load_dwordx2 v[9:10], v[0:1], off
	v_mul_lo_u32 v14, s41, v2
	v_mul_lo_u32 v13, s40, v13
	v_add3_u32 v8, v8, v12, v11
	v_lshlrev_b64 v[7:8], 3, v[7:8]
	v_mad_u64_u32 v[11:12], s[4:5], s40, v2, 0
	v_add_co_u32_e32 v7, vcc, v3, v7
	v_addc_co_u32_e32 v8, vcc, v4, v8, vcc
	global_load_dwordx2 v[7:8], v[7:8], off
	v_add3_u32 v12, v12, v13, v14
	v_add_u32_e32 v2, s2, v2
	v_lshlrev_b64 v[11:12], 3, v[11:12]
	v_cmp_le_i32_e32 vcc, s3, v2
	s_or_b64 s[0:1], vcc, s[0:1]
	v_add_co_u32_e32 v11, vcc, v5, v11
	v_addc_co_u32_e32 v12, vcc, v6, v12, vcc
	s_waitcnt vmcnt(0)
	v_mul_f32_e32 v13, v10, v8
	v_mul_f32_e32 v14, v9, v8
	v_fma_f32 v13, v9, v7, -v13
	v_fmac_f32_e32 v14, v10, v7
	global_store_dwordx2 v[11:12], v[13:14], off
	s_andn2_b64 exec, exec, s[0:1]
	s_cbranch_execnz .LBB9_2
.LBB9_3:
	s_endpgm
	.section	.rodata,"a",@progbits
	.p2align	6, 0x0
	.amdhsa_kernel _ZL19rocblas_dgmm_kernelILi16ELi16ELb0EPK19rocblas_complex_numIfEPS1_EviiT2_lllS5_lllT3_llli
		.amdhsa_group_segment_fixed_size 0
		.amdhsa_private_segment_fixed_size 0
		.amdhsa_kernarg_size 368
		.amdhsa_user_sgpr_count 6
		.amdhsa_user_sgpr_private_segment_buffer 1
		.amdhsa_user_sgpr_dispatch_ptr 0
		.amdhsa_user_sgpr_queue_ptr 0
		.amdhsa_user_sgpr_kernarg_segment_ptr 1
		.amdhsa_user_sgpr_dispatch_id 0
		.amdhsa_user_sgpr_flat_scratch_init 0
		.amdhsa_user_sgpr_private_segment_size 0
		.amdhsa_uses_dynamic_stack 0
		.amdhsa_system_sgpr_private_segment_wavefront_offset 0
		.amdhsa_system_sgpr_workgroup_id_x 1
		.amdhsa_system_sgpr_workgroup_id_y 1
		.amdhsa_system_sgpr_workgroup_id_z 1
		.amdhsa_system_sgpr_workgroup_info 0
		.amdhsa_system_vgpr_workitem_id 1
		.amdhsa_next_free_vgpr 15
		.amdhsa_next_free_sgpr 44
		.amdhsa_reserve_vcc 1
		.amdhsa_reserve_flat_scratch 0
		.amdhsa_float_round_mode_32 0
		.amdhsa_float_round_mode_16_64 0
		.amdhsa_float_denorm_mode_32 3
		.amdhsa_float_denorm_mode_16_64 3
		.amdhsa_dx10_clamp 1
		.amdhsa_ieee_mode 1
		.amdhsa_fp16_overflow 0
		.amdhsa_exception_fp_ieee_invalid_op 0
		.amdhsa_exception_fp_denorm_src 0
		.amdhsa_exception_fp_ieee_div_zero 0
		.amdhsa_exception_fp_ieee_overflow 0
		.amdhsa_exception_fp_ieee_underflow 0
		.amdhsa_exception_fp_ieee_inexact 0
		.amdhsa_exception_int_div_zero 0
	.end_amdhsa_kernel
	.section	.text._ZL19rocblas_dgmm_kernelILi16ELi16ELb0EPK19rocblas_complex_numIfEPS1_EviiT2_lllS5_lllT3_llli,"axG",@progbits,_ZL19rocblas_dgmm_kernelILi16ELi16ELb0EPK19rocblas_complex_numIfEPS1_EviiT2_lllS5_lllT3_llli,comdat
.Lfunc_end9:
	.size	_ZL19rocblas_dgmm_kernelILi16ELi16ELb0EPK19rocblas_complex_numIfEPS1_EviiT2_lllS5_lllT3_llli, .Lfunc_end9-_ZL19rocblas_dgmm_kernelILi16ELi16ELb0EPK19rocblas_complex_numIfEPS1_EviiT2_lllS5_lllT3_llli
                                        ; -- End function
	.set _ZL19rocblas_dgmm_kernelILi16ELi16ELb0EPK19rocblas_complex_numIfEPS1_EviiT2_lllS5_lllT3_llli.num_vgpr, 15
	.set _ZL19rocblas_dgmm_kernelILi16ELi16ELb0EPK19rocblas_complex_numIfEPS1_EviiT2_lllS5_lllT3_llli.num_agpr, 0
	.set _ZL19rocblas_dgmm_kernelILi16ELi16ELb0EPK19rocblas_complex_numIfEPS1_EviiT2_lllS5_lllT3_llli.numbered_sgpr, 44
	.set _ZL19rocblas_dgmm_kernelILi16ELi16ELb0EPK19rocblas_complex_numIfEPS1_EviiT2_lllS5_lllT3_llli.num_named_barrier, 0
	.set _ZL19rocblas_dgmm_kernelILi16ELi16ELb0EPK19rocblas_complex_numIfEPS1_EviiT2_lllS5_lllT3_llli.private_seg_size, 0
	.set _ZL19rocblas_dgmm_kernelILi16ELi16ELb0EPK19rocblas_complex_numIfEPS1_EviiT2_lllS5_lllT3_llli.uses_vcc, 1
	.set _ZL19rocblas_dgmm_kernelILi16ELi16ELb0EPK19rocblas_complex_numIfEPS1_EviiT2_lllS5_lllT3_llli.uses_flat_scratch, 0
	.set _ZL19rocblas_dgmm_kernelILi16ELi16ELb0EPK19rocblas_complex_numIfEPS1_EviiT2_lllS5_lllT3_llli.has_dyn_sized_stack, 0
	.set _ZL19rocblas_dgmm_kernelILi16ELi16ELb0EPK19rocblas_complex_numIfEPS1_EviiT2_lllS5_lllT3_llli.has_recursion, 0
	.set _ZL19rocblas_dgmm_kernelILi16ELi16ELb0EPK19rocblas_complex_numIfEPS1_EviiT2_lllS5_lllT3_llli.has_indirect_call, 0
	.section	.AMDGPU.csdata,"",@progbits
; Kernel info:
; codeLenInByte = 472
; TotalNumSgprs: 48
; NumVgprs: 15
; ScratchSize: 0
; MemoryBound: 0
; FloatMode: 240
; IeeeMode: 1
; LDSByteSize: 0 bytes/workgroup (compile time only)
; SGPRBlocks: 5
; VGPRBlocks: 3
; NumSGPRsForWavesPerEU: 48
; NumVGPRsForWavesPerEU: 15
; Occupancy: 10
; WaveLimiterHint : 0
; COMPUTE_PGM_RSRC2:SCRATCH_EN: 0
; COMPUTE_PGM_RSRC2:USER_SGPR: 6
; COMPUTE_PGM_RSRC2:TRAP_HANDLER: 0
; COMPUTE_PGM_RSRC2:TGID_X_EN: 1
; COMPUTE_PGM_RSRC2:TGID_Y_EN: 1
; COMPUTE_PGM_RSRC2:TGID_Z_EN: 1
; COMPUTE_PGM_RSRC2:TIDIG_COMP_CNT: 1
	.section	.text._ZL26rocblas_dgmm_gfx942_kernelILi32ELi32ELb1EPK19rocblas_complex_numIfEPS1_EviiT2_lllS5_lllT3_lll,"axG",@progbits,_ZL26rocblas_dgmm_gfx942_kernelILi32ELi32ELb1EPK19rocblas_complex_numIfEPS1_EviiT2_lllS5_lllT3_lll,comdat
	.globl	_ZL26rocblas_dgmm_gfx942_kernelILi32ELi32ELb1EPK19rocblas_complex_numIfEPS1_EviiT2_lllS5_lllT3_lll ; -- Begin function _ZL26rocblas_dgmm_gfx942_kernelILi32ELi32ELb1EPK19rocblas_complex_numIfEPS1_EviiT2_lllS5_lllT3_lll
	.p2align	8
	.type	_ZL26rocblas_dgmm_gfx942_kernelILi32ELi32ELb1EPK19rocblas_complex_numIfEPS1_EviiT2_lllS5_lllT3_lll,@function
_ZL26rocblas_dgmm_gfx942_kernelILi32ELi32ELb1EPK19rocblas_complex_numIfEPS1_EviiT2_lllS5_lllT3_lll: ; @_ZL26rocblas_dgmm_gfx942_kernelILi32ELi32ELb1EPK19rocblas_complex_numIfEPS1_EviiT2_lllS5_lllT3_lll
; %bb.0:
	s_endpgm
	.section	.rodata,"a",@progbits
	.p2align	6, 0x0
	.amdhsa_kernel _ZL26rocblas_dgmm_gfx942_kernelILi32ELi32ELb1EPK19rocblas_complex_numIfEPS1_EviiT2_lllS5_lllT3_lll
		.amdhsa_group_segment_fixed_size 0
		.amdhsa_private_segment_fixed_size 0
		.amdhsa_kernarg_size 104
		.amdhsa_user_sgpr_count 6
		.amdhsa_user_sgpr_private_segment_buffer 1
		.amdhsa_user_sgpr_dispatch_ptr 0
		.amdhsa_user_sgpr_queue_ptr 0
		.amdhsa_user_sgpr_kernarg_segment_ptr 1
		.amdhsa_user_sgpr_dispatch_id 0
		.amdhsa_user_sgpr_flat_scratch_init 0
		.amdhsa_user_sgpr_private_segment_size 0
		.amdhsa_uses_dynamic_stack 0
		.amdhsa_system_sgpr_private_segment_wavefront_offset 0
		.amdhsa_system_sgpr_workgroup_id_x 1
		.amdhsa_system_sgpr_workgroup_id_y 0
		.amdhsa_system_sgpr_workgroup_id_z 0
		.amdhsa_system_sgpr_workgroup_info 0
		.amdhsa_system_vgpr_workitem_id 0
		.amdhsa_next_free_vgpr 1
		.amdhsa_next_free_sgpr 0
		.amdhsa_reserve_vcc 0
		.amdhsa_reserve_flat_scratch 0
		.amdhsa_float_round_mode_32 0
		.amdhsa_float_round_mode_16_64 0
		.amdhsa_float_denorm_mode_32 3
		.amdhsa_float_denorm_mode_16_64 3
		.amdhsa_dx10_clamp 1
		.amdhsa_ieee_mode 1
		.amdhsa_fp16_overflow 0
		.amdhsa_exception_fp_ieee_invalid_op 0
		.amdhsa_exception_fp_denorm_src 0
		.amdhsa_exception_fp_ieee_div_zero 0
		.amdhsa_exception_fp_ieee_overflow 0
		.amdhsa_exception_fp_ieee_underflow 0
		.amdhsa_exception_fp_ieee_inexact 0
		.amdhsa_exception_int_div_zero 0
	.end_amdhsa_kernel
	.section	.text._ZL26rocblas_dgmm_gfx942_kernelILi32ELi32ELb1EPK19rocblas_complex_numIfEPS1_EviiT2_lllS5_lllT3_lll,"axG",@progbits,_ZL26rocblas_dgmm_gfx942_kernelILi32ELi32ELb1EPK19rocblas_complex_numIfEPS1_EviiT2_lllS5_lllT3_lll,comdat
.Lfunc_end10:
	.size	_ZL26rocblas_dgmm_gfx942_kernelILi32ELi32ELb1EPK19rocblas_complex_numIfEPS1_EviiT2_lllS5_lllT3_lll, .Lfunc_end10-_ZL26rocblas_dgmm_gfx942_kernelILi32ELi32ELb1EPK19rocblas_complex_numIfEPS1_EviiT2_lllS5_lllT3_lll
                                        ; -- End function
	.set _ZL26rocblas_dgmm_gfx942_kernelILi32ELi32ELb1EPK19rocblas_complex_numIfEPS1_EviiT2_lllS5_lllT3_lll.num_vgpr, 0
	.set _ZL26rocblas_dgmm_gfx942_kernelILi32ELi32ELb1EPK19rocblas_complex_numIfEPS1_EviiT2_lllS5_lllT3_lll.num_agpr, 0
	.set _ZL26rocblas_dgmm_gfx942_kernelILi32ELi32ELb1EPK19rocblas_complex_numIfEPS1_EviiT2_lllS5_lllT3_lll.numbered_sgpr, 0
	.set _ZL26rocblas_dgmm_gfx942_kernelILi32ELi32ELb1EPK19rocblas_complex_numIfEPS1_EviiT2_lllS5_lllT3_lll.num_named_barrier, 0
	.set _ZL26rocblas_dgmm_gfx942_kernelILi32ELi32ELb1EPK19rocblas_complex_numIfEPS1_EviiT2_lllS5_lllT3_lll.private_seg_size, 0
	.set _ZL26rocblas_dgmm_gfx942_kernelILi32ELi32ELb1EPK19rocblas_complex_numIfEPS1_EviiT2_lllS5_lllT3_lll.uses_vcc, 0
	.set _ZL26rocblas_dgmm_gfx942_kernelILi32ELi32ELb1EPK19rocblas_complex_numIfEPS1_EviiT2_lllS5_lllT3_lll.uses_flat_scratch, 0
	.set _ZL26rocblas_dgmm_gfx942_kernelILi32ELi32ELb1EPK19rocblas_complex_numIfEPS1_EviiT2_lllS5_lllT3_lll.has_dyn_sized_stack, 0
	.set _ZL26rocblas_dgmm_gfx942_kernelILi32ELi32ELb1EPK19rocblas_complex_numIfEPS1_EviiT2_lllS5_lllT3_lll.has_recursion, 0
	.set _ZL26rocblas_dgmm_gfx942_kernelILi32ELi32ELb1EPK19rocblas_complex_numIfEPS1_EviiT2_lllS5_lllT3_lll.has_indirect_call, 0
	.section	.AMDGPU.csdata,"",@progbits
; Kernel info:
; codeLenInByte = 4
; TotalNumSgprs: 4
; NumVgprs: 0
; ScratchSize: 0
; MemoryBound: 0
; FloatMode: 240
; IeeeMode: 1
; LDSByteSize: 0 bytes/workgroup (compile time only)
; SGPRBlocks: 0
; VGPRBlocks: 0
; NumSGPRsForWavesPerEU: 4
; NumVGPRsForWavesPerEU: 1
; Occupancy: 10
; WaveLimiterHint : 0
; COMPUTE_PGM_RSRC2:SCRATCH_EN: 0
; COMPUTE_PGM_RSRC2:USER_SGPR: 6
; COMPUTE_PGM_RSRC2:TRAP_HANDLER: 0
; COMPUTE_PGM_RSRC2:TGID_X_EN: 1
; COMPUTE_PGM_RSRC2:TGID_Y_EN: 0
; COMPUTE_PGM_RSRC2:TGID_Z_EN: 0
; COMPUTE_PGM_RSRC2:TIDIG_COMP_CNT: 0
	.section	.text._ZL19rocblas_dgmm_kernelILi16ELi16ELb1EPK19rocblas_complex_numIfEPS1_EviiT2_lllS5_lllT3_llli,"axG",@progbits,_ZL19rocblas_dgmm_kernelILi16ELi16ELb1EPK19rocblas_complex_numIfEPS1_EviiT2_lllS5_lllT3_llli,comdat
	.globl	_ZL19rocblas_dgmm_kernelILi16ELi16ELb1EPK19rocblas_complex_numIfEPS1_EviiT2_lllS5_lllT3_llli ; -- Begin function _ZL19rocblas_dgmm_kernelILi16ELi16ELb1EPK19rocblas_complex_numIfEPS1_EviiT2_lllS5_lllT3_llli
	.p2align	8
	.type	_ZL19rocblas_dgmm_kernelILi16ELi16ELb1EPK19rocblas_complex_numIfEPS1_EviiT2_lllS5_lllT3_llli,@function
_ZL19rocblas_dgmm_kernelILi16ELi16ELb1EPK19rocblas_complex_numIfEPS1_EviiT2_lllS5_lllT3_llli: ; @_ZL19rocblas_dgmm_kernelILi16ELi16ELb1EPK19rocblas_complex_numIfEPS1_EviiT2_lllS5_lllT3_llli
; %bb.0:
	s_load_dwordx2 s[2:3], s[4:5], 0x0
	v_lshl_add_u32 v0, s6, 4, v0
	v_lshl_add_u32 v2, s7, 4, v1
	s_waitcnt lgkmcnt(0)
	v_cmp_gt_i32_e32 vcc, s2, v0
	v_cmp_gt_i32_e64 s[0:1], s3, v2
	s_and_b64 s[0:1], vcc, s[0:1]
	s_and_saveexec_b64 s[6:7], s[0:1]
	s_cbranch_execz .LBB11_3
; %bb.1:
	s_load_dwordx8 s[36:43], s[4:5], 0x48
	s_load_dwordx16 s[12:27], s[4:5], 0x8
	v_ashrrev_i32_e32 v1, 31, v0
	v_lshlrev_b64 v[3:4], 3, v[0:1]
	s_waitcnt lgkmcnt(0)
	s_lshl_b64 s[0:1], s[38:39], 3
	s_add_u32 s6, s36, s0
	s_addc_u32 s7, s37, s1
	s_lshl_b64 s[0:1], s[22:23], 3
	s_add_u32 s9, s20, s0
	s_addc_u32 s10, s21, s1
	s_lshl_b64 s[0:1], s[14:15], 3
	s_mul_i32 s2, s19, s8
	s_add_u32 s11, s12, s0
	s_mul_hi_u32 s0, s18, s8
	s_addc_u32 s12, s13, s1
	s_add_i32 s1, s0, s2
	s_mul_i32 s0, s18, s8
	s_lshl_b64 s[0:1], s[0:1], 3
	s_add_u32 s11, s11, s0
	s_addc_u32 s12, s12, s1
	s_mul_i32 s0, s27, s8
	s_mul_hi_u32 s1, s26, s8
	s_add_i32 s1, s1, s0
	s_mul_i32 s0, s26, s8
	s_lshl_b64 s[0:1], s[0:1], 3
	s_add_u32 s2, s9, s0
	s_addc_u32 s9, s10, s1
	s_mul_i32 s0, s43, s8
	s_mul_hi_u32 s1, s42, s8
	s_add_i32 s1, s1, s0
	s_mul_i32 s0, s42, s8
	s_lshl_b64 s[0:1], s[0:1], 3
	s_add_u32 s0, s6, s0
	s_addc_u32 s1, s7, s1
	v_mov_b32_e32 v5, s1
	s_load_dword s1, s[4:5], 0x74
	v_mov_b32_e32 v1, s12
	v_add_co_u32_e32 v0, vcc, s11, v3
	v_addc_co_u32_e32 v1, vcc, v1, v4, vcc
	v_add_co_u32_e32 v3, vcc, s0, v3
	v_addc_co_u32_e32 v4, vcc, v5, v4, vcc
	s_waitcnt lgkmcnt(0)
	s_lshl_b32 s4, s1, 4
	s_mov_b64 s[0:1], 0
	v_mov_b32_e32 v5, s9
.LBB11_2:                               ; =>This Inner Loop Header: Depth=1
	v_ashrrev_i32_e32 v14, 31, v2
	v_mul_lo_u32 v10, s17, v2
	v_mad_u64_u32 v[6:7], s[6:7], s16, v2, 0
	v_mul_lo_u32 v12, s16, v14
	v_mul_lo_u32 v11, s25, v2
	v_mad_u64_u32 v[8:9], s[6:7], s24, v2, 0
	v_mul_lo_u32 v13, s24, v14
	v_add3_u32 v7, v7, v12, v10
	v_lshlrev_b64 v[6:7], 3, v[6:7]
	v_add3_u32 v9, v9, v13, v11
	v_lshlrev_b64 v[8:9], 3, v[8:9]
	v_add_co_u32_e32 v6, vcc, v0, v6
	v_addc_co_u32_e32 v7, vcc, v1, v7, vcc
	v_add_co_u32_e32 v8, vcc, s2, v8
	v_addc_co_u32_e32 v9, vcc, v5, v9, vcc
	global_load_dwordx2 v[10:11], v[6:7], off
	global_load_dwordx2 v[12:13], v[8:9], off
	v_mul_lo_u32 v8, s41, v2
	v_mad_u64_u32 v[6:7], s[6:7], s40, v2, 0
	v_mul_lo_u32 v9, s40, v14
	v_add_u32_e32 v2, s4, v2
	v_cmp_le_i32_e32 vcc, s3, v2
	s_or_b64 s[0:1], vcc, s[0:1]
	v_add3_u32 v7, v7, v9, v8
	v_lshlrev_b64 v[6:7], 3, v[6:7]
	v_add_co_u32_e32 v6, vcc, v3, v6
	v_addc_co_u32_e32 v7, vcc, v4, v7, vcc
	s_waitcnt vmcnt(0)
	v_mul_f32_e32 v8, v13, v11
	v_mul_f32_e32 v9, v12, v11
	v_fma_f32 v8, v12, v10, -v8
	v_fmac_f32_e32 v9, v13, v10
	global_store_dwordx2 v[6:7], v[8:9], off
	s_andn2_b64 exec, exec, s[0:1]
	s_cbranch_execnz .LBB11_2
.LBB11_3:
	s_endpgm
	.section	.rodata,"a",@progbits
	.p2align	6, 0x0
	.amdhsa_kernel _ZL19rocblas_dgmm_kernelILi16ELi16ELb1EPK19rocblas_complex_numIfEPS1_EviiT2_lllS5_lllT3_llli
		.amdhsa_group_segment_fixed_size 0
		.amdhsa_private_segment_fixed_size 0
		.amdhsa_kernarg_size 368
		.amdhsa_user_sgpr_count 6
		.amdhsa_user_sgpr_private_segment_buffer 1
		.amdhsa_user_sgpr_dispatch_ptr 0
		.amdhsa_user_sgpr_queue_ptr 0
		.amdhsa_user_sgpr_kernarg_segment_ptr 1
		.amdhsa_user_sgpr_dispatch_id 0
		.amdhsa_user_sgpr_flat_scratch_init 0
		.amdhsa_user_sgpr_private_segment_size 0
		.amdhsa_uses_dynamic_stack 0
		.amdhsa_system_sgpr_private_segment_wavefront_offset 0
		.amdhsa_system_sgpr_workgroup_id_x 1
		.amdhsa_system_sgpr_workgroup_id_y 1
		.amdhsa_system_sgpr_workgroup_id_z 1
		.amdhsa_system_sgpr_workgroup_info 0
		.amdhsa_system_vgpr_workitem_id 1
		.amdhsa_next_free_vgpr 15
		.amdhsa_next_free_sgpr 44
		.amdhsa_reserve_vcc 1
		.amdhsa_reserve_flat_scratch 0
		.amdhsa_float_round_mode_32 0
		.amdhsa_float_round_mode_16_64 0
		.amdhsa_float_denorm_mode_32 3
		.amdhsa_float_denorm_mode_16_64 3
		.amdhsa_dx10_clamp 1
		.amdhsa_ieee_mode 1
		.amdhsa_fp16_overflow 0
		.amdhsa_exception_fp_ieee_invalid_op 0
		.amdhsa_exception_fp_denorm_src 0
		.amdhsa_exception_fp_ieee_div_zero 0
		.amdhsa_exception_fp_ieee_overflow 0
		.amdhsa_exception_fp_ieee_underflow 0
		.amdhsa_exception_fp_ieee_inexact 0
		.amdhsa_exception_int_div_zero 0
	.end_amdhsa_kernel
	.section	.text._ZL19rocblas_dgmm_kernelILi16ELi16ELb1EPK19rocblas_complex_numIfEPS1_EviiT2_lllS5_lllT3_llli,"axG",@progbits,_ZL19rocblas_dgmm_kernelILi16ELi16ELb1EPK19rocblas_complex_numIfEPS1_EviiT2_lllS5_lllT3_llli,comdat
.Lfunc_end11:
	.size	_ZL19rocblas_dgmm_kernelILi16ELi16ELb1EPK19rocblas_complex_numIfEPS1_EviiT2_lllS5_lllT3_llli, .Lfunc_end11-_ZL19rocblas_dgmm_kernelILi16ELi16ELb1EPK19rocblas_complex_numIfEPS1_EviiT2_lllS5_lllT3_llli
                                        ; -- End function
	.set _ZL19rocblas_dgmm_kernelILi16ELi16ELb1EPK19rocblas_complex_numIfEPS1_EviiT2_lllS5_lllT3_llli.num_vgpr, 15
	.set _ZL19rocblas_dgmm_kernelILi16ELi16ELb1EPK19rocblas_complex_numIfEPS1_EviiT2_lllS5_lllT3_llli.num_agpr, 0
	.set _ZL19rocblas_dgmm_kernelILi16ELi16ELb1EPK19rocblas_complex_numIfEPS1_EviiT2_lllS5_lllT3_llli.numbered_sgpr, 44
	.set _ZL19rocblas_dgmm_kernelILi16ELi16ELb1EPK19rocblas_complex_numIfEPS1_EviiT2_lllS5_lllT3_llli.num_named_barrier, 0
	.set _ZL19rocblas_dgmm_kernelILi16ELi16ELb1EPK19rocblas_complex_numIfEPS1_EviiT2_lllS5_lllT3_llli.private_seg_size, 0
	.set _ZL19rocblas_dgmm_kernelILi16ELi16ELb1EPK19rocblas_complex_numIfEPS1_EviiT2_lllS5_lllT3_llli.uses_vcc, 1
	.set _ZL19rocblas_dgmm_kernelILi16ELi16ELb1EPK19rocblas_complex_numIfEPS1_EviiT2_lllS5_lllT3_llli.uses_flat_scratch, 0
	.set _ZL19rocblas_dgmm_kernelILi16ELi16ELb1EPK19rocblas_complex_numIfEPS1_EviiT2_lllS5_lllT3_llli.has_dyn_sized_stack, 0
	.set _ZL19rocblas_dgmm_kernelILi16ELi16ELb1EPK19rocblas_complex_numIfEPS1_EviiT2_lllS5_lllT3_llli.has_recursion, 0
	.set _ZL19rocblas_dgmm_kernelILi16ELi16ELb1EPK19rocblas_complex_numIfEPS1_EviiT2_lllS5_lllT3_llli.has_indirect_call, 0
	.section	.AMDGPU.csdata,"",@progbits
; Kernel info:
; codeLenInByte = 472
; TotalNumSgprs: 48
; NumVgprs: 15
; ScratchSize: 0
; MemoryBound: 0
; FloatMode: 240
; IeeeMode: 1
; LDSByteSize: 0 bytes/workgroup (compile time only)
; SGPRBlocks: 5
; VGPRBlocks: 3
; NumSGPRsForWavesPerEU: 48
; NumVGPRsForWavesPerEU: 15
; Occupancy: 10
; WaveLimiterHint : 0
; COMPUTE_PGM_RSRC2:SCRATCH_EN: 0
; COMPUTE_PGM_RSRC2:USER_SGPR: 6
; COMPUTE_PGM_RSRC2:TRAP_HANDLER: 0
; COMPUTE_PGM_RSRC2:TGID_X_EN: 1
; COMPUTE_PGM_RSRC2:TGID_Y_EN: 1
; COMPUTE_PGM_RSRC2:TGID_Z_EN: 1
; COMPUTE_PGM_RSRC2:TIDIG_COMP_CNT: 1
	.section	.text._ZL26rocblas_dgmm_gfx942_kernelILi32ELi32ELb0EPK19rocblas_complex_numIdEPS1_EviiT2_lllS5_lllT3_lll,"axG",@progbits,_ZL26rocblas_dgmm_gfx942_kernelILi32ELi32ELb0EPK19rocblas_complex_numIdEPS1_EviiT2_lllS5_lllT3_lll,comdat
	.globl	_ZL26rocblas_dgmm_gfx942_kernelILi32ELi32ELb0EPK19rocblas_complex_numIdEPS1_EviiT2_lllS5_lllT3_lll ; -- Begin function _ZL26rocblas_dgmm_gfx942_kernelILi32ELi32ELb0EPK19rocblas_complex_numIdEPS1_EviiT2_lllS5_lllT3_lll
	.p2align	8
	.type	_ZL26rocblas_dgmm_gfx942_kernelILi32ELi32ELb0EPK19rocblas_complex_numIdEPS1_EviiT2_lllS5_lllT3_lll,@function
_ZL26rocblas_dgmm_gfx942_kernelILi32ELi32ELb0EPK19rocblas_complex_numIdEPS1_EviiT2_lllS5_lllT3_lll: ; @_ZL26rocblas_dgmm_gfx942_kernelILi32ELi32ELb0EPK19rocblas_complex_numIdEPS1_EviiT2_lllS5_lllT3_lll
; %bb.0:
	s_endpgm
	.section	.rodata,"a",@progbits
	.p2align	6, 0x0
	.amdhsa_kernel _ZL26rocblas_dgmm_gfx942_kernelILi32ELi32ELb0EPK19rocblas_complex_numIdEPS1_EviiT2_lllS5_lllT3_lll
		.amdhsa_group_segment_fixed_size 0
		.amdhsa_private_segment_fixed_size 0
		.amdhsa_kernarg_size 104
		.amdhsa_user_sgpr_count 6
		.amdhsa_user_sgpr_private_segment_buffer 1
		.amdhsa_user_sgpr_dispatch_ptr 0
		.amdhsa_user_sgpr_queue_ptr 0
		.amdhsa_user_sgpr_kernarg_segment_ptr 1
		.amdhsa_user_sgpr_dispatch_id 0
		.amdhsa_user_sgpr_flat_scratch_init 0
		.amdhsa_user_sgpr_private_segment_size 0
		.amdhsa_uses_dynamic_stack 0
		.amdhsa_system_sgpr_private_segment_wavefront_offset 0
		.amdhsa_system_sgpr_workgroup_id_x 1
		.amdhsa_system_sgpr_workgroup_id_y 0
		.amdhsa_system_sgpr_workgroup_id_z 0
		.amdhsa_system_sgpr_workgroup_info 0
		.amdhsa_system_vgpr_workitem_id 0
		.amdhsa_next_free_vgpr 1
		.amdhsa_next_free_sgpr 0
		.amdhsa_reserve_vcc 0
		.amdhsa_reserve_flat_scratch 0
		.amdhsa_float_round_mode_32 0
		.amdhsa_float_round_mode_16_64 0
		.amdhsa_float_denorm_mode_32 3
		.amdhsa_float_denorm_mode_16_64 3
		.amdhsa_dx10_clamp 1
		.amdhsa_ieee_mode 1
		.amdhsa_fp16_overflow 0
		.amdhsa_exception_fp_ieee_invalid_op 0
		.amdhsa_exception_fp_denorm_src 0
		.amdhsa_exception_fp_ieee_div_zero 0
		.amdhsa_exception_fp_ieee_overflow 0
		.amdhsa_exception_fp_ieee_underflow 0
		.amdhsa_exception_fp_ieee_inexact 0
		.amdhsa_exception_int_div_zero 0
	.end_amdhsa_kernel
	.section	.text._ZL26rocblas_dgmm_gfx942_kernelILi32ELi32ELb0EPK19rocblas_complex_numIdEPS1_EviiT2_lllS5_lllT3_lll,"axG",@progbits,_ZL26rocblas_dgmm_gfx942_kernelILi32ELi32ELb0EPK19rocblas_complex_numIdEPS1_EviiT2_lllS5_lllT3_lll,comdat
.Lfunc_end12:
	.size	_ZL26rocblas_dgmm_gfx942_kernelILi32ELi32ELb0EPK19rocblas_complex_numIdEPS1_EviiT2_lllS5_lllT3_lll, .Lfunc_end12-_ZL26rocblas_dgmm_gfx942_kernelILi32ELi32ELb0EPK19rocblas_complex_numIdEPS1_EviiT2_lllS5_lllT3_lll
                                        ; -- End function
	.set _ZL26rocblas_dgmm_gfx942_kernelILi32ELi32ELb0EPK19rocblas_complex_numIdEPS1_EviiT2_lllS5_lllT3_lll.num_vgpr, 0
	.set _ZL26rocblas_dgmm_gfx942_kernelILi32ELi32ELb0EPK19rocblas_complex_numIdEPS1_EviiT2_lllS5_lllT3_lll.num_agpr, 0
	.set _ZL26rocblas_dgmm_gfx942_kernelILi32ELi32ELb0EPK19rocblas_complex_numIdEPS1_EviiT2_lllS5_lllT3_lll.numbered_sgpr, 0
	.set _ZL26rocblas_dgmm_gfx942_kernelILi32ELi32ELb0EPK19rocblas_complex_numIdEPS1_EviiT2_lllS5_lllT3_lll.num_named_barrier, 0
	.set _ZL26rocblas_dgmm_gfx942_kernelILi32ELi32ELb0EPK19rocblas_complex_numIdEPS1_EviiT2_lllS5_lllT3_lll.private_seg_size, 0
	.set _ZL26rocblas_dgmm_gfx942_kernelILi32ELi32ELb0EPK19rocblas_complex_numIdEPS1_EviiT2_lllS5_lllT3_lll.uses_vcc, 0
	.set _ZL26rocblas_dgmm_gfx942_kernelILi32ELi32ELb0EPK19rocblas_complex_numIdEPS1_EviiT2_lllS5_lllT3_lll.uses_flat_scratch, 0
	.set _ZL26rocblas_dgmm_gfx942_kernelILi32ELi32ELb0EPK19rocblas_complex_numIdEPS1_EviiT2_lllS5_lllT3_lll.has_dyn_sized_stack, 0
	.set _ZL26rocblas_dgmm_gfx942_kernelILi32ELi32ELb0EPK19rocblas_complex_numIdEPS1_EviiT2_lllS5_lllT3_lll.has_recursion, 0
	.set _ZL26rocblas_dgmm_gfx942_kernelILi32ELi32ELb0EPK19rocblas_complex_numIdEPS1_EviiT2_lllS5_lllT3_lll.has_indirect_call, 0
	.section	.AMDGPU.csdata,"",@progbits
; Kernel info:
; codeLenInByte = 4
; TotalNumSgprs: 4
; NumVgprs: 0
; ScratchSize: 0
; MemoryBound: 0
; FloatMode: 240
; IeeeMode: 1
; LDSByteSize: 0 bytes/workgroup (compile time only)
; SGPRBlocks: 0
; VGPRBlocks: 0
; NumSGPRsForWavesPerEU: 4
; NumVGPRsForWavesPerEU: 1
; Occupancy: 10
; WaveLimiterHint : 0
; COMPUTE_PGM_RSRC2:SCRATCH_EN: 0
; COMPUTE_PGM_RSRC2:USER_SGPR: 6
; COMPUTE_PGM_RSRC2:TRAP_HANDLER: 0
; COMPUTE_PGM_RSRC2:TGID_X_EN: 1
; COMPUTE_PGM_RSRC2:TGID_Y_EN: 0
; COMPUTE_PGM_RSRC2:TGID_Z_EN: 0
; COMPUTE_PGM_RSRC2:TIDIG_COMP_CNT: 0
	.section	.text._ZL19rocblas_dgmm_kernelILi16ELi16ELb0EPK19rocblas_complex_numIdEPS1_EviiT2_lllS5_lllT3_llli,"axG",@progbits,_ZL19rocblas_dgmm_kernelILi16ELi16ELb0EPK19rocblas_complex_numIdEPS1_EviiT2_lllS5_lllT3_llli,comdat
	.globl	_ZL19rocblas_dgmm_kernelILi16ELi16ELb0EPK19rocblas_complex_numIdEPS1_EviiT2_lllS5_lllT3_llli ; -- Begin function _ZL19rocblas_dgmm_kernelILi16ELi16ELb0EPK19rocblas_complex_numIdEPS1_EviiT2_lllS5_lllT3_llli
	.p2align	8
	.type	_ZL19rocblas_dgmm_kernelILi16ELi16ELb0EPK19rocblas_complex_numIdEPS1_EviiT2_lllS5_lllT3_llli,@function
_ZL19rocblas_dgmm_kernelILi16ELi16ELb0EPK19rocblas_complex_numIdEPS1_EviiT2_lllS5_lllT3_llli: ; @_ZL19rocblas_dgmm_kernelILi16ELi16ELb0EPK19rocblas_complex_numIdEPS1_EviiT2_lllS5_lllT3_llli
; %bb.0:
	s_load_dwordx2 s[2:3], s[4:5], 0x0
	v_lshl_add_u32 v0, s6, 4, v0
	v_lshl_add_u32 v2, s7, 4, v1
	s_waitcnt lgkmcnt(0)
	v_cmp_gt_i32_e32 vcc, s2, v0
	v_cmp_gt_i32_e64 s[0:1], s3, v2
	s_and_b64 s[0:1], vcc, s[0:1]
	s_and_saveexec_b64 s[6:7], s[0:1]
	s_cbranch_execz .LBB13_3
; %bb.1:
	s_load_dwordx8 s[36:43], s[4:5], 0x48
	s_load_dwordx16 s[12:27], s[4:5], 0x8
	v_ashrrev_i32_e32 v1, 31, v0
	v_lshlrev_b64 v[5:6], 4, v[0:1]
	s_waitcnt lgkmcnt(0)
	s_lshl_b64 s[0:1], s[38:39], 4
	s_add_u32 s6, s36, s0
	s_addc_u32 s7, s37, s1
	s_lshl_b64 s[0:1], s[22:23], 4
	s_add_u32 s9, s20, s0
	s_addc_u32 s10, s21, s1
	s_lshl_b64 s[0:1], s[14:15], 4
	s_mul_i32 s2, s19, s8
	s_add_u32 s11, s12, s0
	s_mul_hi_u32 s0, s18, s8
	s_addc_u32 s12, s13, s1
	s_add_i32 s1, s0, s2
	s_mul_i32 s0, s18, s8
	s_lshl_b64 s[0:1], s[0:1], 4
	s_add_u32 s2, s11, s0
	s_addc_u32 s11, s12, s1
	s_mul_i32 s0, s27, s8
	s_mul_hi_u32 s1, s26, s8
	s_add_i32 s1, s1, s0
	s_mul_i32 s0, s26, s8
	s_lshl_b64 s[0:1], s[0:1], 4
	s_add_u32 s9, s9, s0
	s_addc_u32 s10, s10, s1
	s_mul_i32 s0, s43, s8
	s_mul_hi_u32 s1, s42, s8
	s_add_i32 s1, s1, s0
	s_mul_i32 s0, s42, s8
	s_lshl_b64 s[0:1], s[0:1], 4
	s_add_u32 s6, s6, s0
	s_addc_u32 s7, s7, s1
	v_mul_lo_u32 v7, s25, v0
	v_mul_lo_u32 v8, s24, v1
	v_mad_u64_u32 v[0:1], s[0:1], s24, v0, 0
	v_mov_b32_e32 v4, s11
	v_add_co_u32_e32 v3, vcc, s2, v5
	v_add3_u32 v1, v1, v8, v7
	v_lshlrev_b64 v[0:1], 4, v[0:1]
	s_load_dword s0, s[4:5], 0x74
	v_addc_co_u32_e32 v4, vcc, v4, v6, vcc
	v_mov_b32_e32 v7, s10
	v_add_co_u32_e32 v0, vcc, s9, v0
	v_addc_co_u32_e32 v1, vcc, v7, v1, vcc
	v_mov_b32_e32 v7, s7
	v_add_co_u32_e32 v5, vcc, s6, v5
	v_addc_co_u32_e32 v6, vcc, v7, v6, vcc
	s_waitcnt lgkmcnt(0)
	s_lshl_b32 s2, s0, 4
	s_mov_b64 s[0:1], 0
.LBB13_2:                               ; =>This Inner Loop Header: Depth=1
	v_ashrrev_i32_e32 v17, 31, v2
	v_mul_lo_u32 v13, s17, v2
	v_mad_u64_u32 v[11:12], s[4:5], s16, v2, 0
	v_mul_lo_u32 v14, s16, v17
	global_load_dwordx4 v[7:10], v[0:1], off
	v_add3_u32 v12, v12, v14, v13
	v_lshlrev_b64 v[11:12], 4, v[11:12]
	v_add_co_u32_e32 v11, vcc, v3, v11
	v_addc_co_u32_e32 v12, vcc, v4, v12, vcc
	global_load_dwordx4 v[11:14], v[11:12], off
	s_waitcnt vmcnt(0)
	v_mul_f64 v[15:16], v[9:10], v[13:14]
	v_mul_f64 v[13:14], v[7:8], v[13:14]
	v_fma_f64 v[7:8], v[7:8], v[11:12], -v[15:16]
	v_fma_f64 v[9:10], v[9:10], v[11:12], v[13:14]
	v_mul_lo_u32 v13, s41, v2
	v_mad_u64_u32 v[11:12], s[4:5], s40, v2, 0
	v_mul_lo_u32 v14, s40, v17
	v_add_u32_e32 v2, s2, v2
	v_cmp_le_i32_e32 vcc, s3, v2
	s_or_b64 s[0:1], vcc, s[0:1]
	v_add3_u32 v12, v12, v14, v13
	v_lshlrev_b64 v[11:12], 4, v[11:12]
	v_add_co_u32_e32 v11, vcc, v5, v11
	v_addc_co_u32_e32 v12, vcc, v6, v12, vcc
	global_store_dwordx4 v[11:12], v[7:10], off
	s_andn2_b64 exec, exec, s[0:1]
	s_cbranch_execnz .LBB13_2
.LBB13_3:
	s_endpgm
	.section	.rodata,"a",@progbits
	.p2align	6, 0x0
	.amdhsa_kernel _ZL19rocblas_dgmm_kernelILi16ELi16ELb0EPK19rocblas_complex_numIdEPS1_EviiT2_lllS5_lllT3_llli
		.amdhsa_group_segment_fixed_size 0
		.amdhsa_private_segment_fixed_size 0
		.amdhsa_kernarg_size 368
		.amdhsa_user_sgpr_count 6
		.amdhsa_user_sgpr_private_segment_buffer 1
		.amdhsa_user_sgpr_dispatch_ptr 0
		.amdhsa_user_sgpr_queue_ptr 0
		.amdhsa_user_sgpr_kernarg_segment_ptr 1
		.amdhsa_user_sgpr_dispatch_id 0
		.amdhsa_user_sgpr_flat_scratch_init 0
		.amdhsa_user_sgpr_private_segment_size 0
		.amdhsa_uses_dynamic_stack 0
		.amdhsa_system_sgpr_private_segment_wavefront_offset 0
		.amdhsa_system_sgpr_workgroup_id_x 1
		.amdhsa_system_sgpr_workgroup_id_y 1
		.amdhsa_system_sgpr_workgroup_id_z 1
		.amdhsa_system_sgpr_workgroup_info 0
		.amdhsa_system_vgpr_workitem_id 1
		.amdhsa_next_free_vgpr 18
		.amdhsa_next_free_sgpr 44
		.amdhsa_reserve_vcc 1
		.amdhsa_reserve_flat_scratch 0
		.amdhsa_float_round_mode_32 0
		.amdhsa_float_round_mode_16_64 0
		.amdhsa_float_denorm_mode_32 3
		.amdhsa_float_denorm_mode_16_64 3
		.amdhsa_dx10_clamp 1
		.amdhsa_ieee_mode 1
		.amdhsa_fp16_overflow 0
		.amdhsa_exception_fp_ieee_invalid_op 0
		.amdhsa_exception_fp_denorm_src 0
		.amdhsa_exception_fp_ieee_div_zero 0
		.amdhsa_exception_fp_ieee_overflow 0
		.amdhsa_exception_fp_ieee_underflow 0
		.amdhsa_exception_fp_ieee_inexact 0
		.amdhsa_exception_int_div_zero 0
	.end_amdhsa_kernel
	.section	.text._ZL19rocblas_dgmm_kernelILi16ELi16ELb0EPK19rocblas_complex_numIdEPS1_EviiT2_lllS5_lllT3_llli,"axG",@progbits,_ZL19rocblas_dgmm_kernelILi16ELi16ELb0EPK19rocblas_complex_numIdEPS1_EviiT2_lllS5_lllT3_llli,comdat
.Lfunc_end13:
	.size	_ZL19rocblas_dgmm_kernelILi16ELi16ELb0EPK19rocblas_complex_numIdEPS1_EviiT2_lllS5_lllT3_llli, .Lfunc_end13-_ZL19rocblas_dgmm_kernelILi16ELi16ELb0EPK19rocblas_complex_numIdEPS1_EviiT2_lllS5_lllT3_llli
                                        ; -- End function
	.set _ZL19rocblas_dgmm_kernelILi16ELi16ELb0EPK19rocblas_complex_numIdEPS1_EviiT2_lllS5_lllT3_llli.num_vgpr, 18
	.set _ZL19rocblas_dgmm_kernelILi16ELi16ELb0EPK19rocblas_complex_numIdEPS1_EviiT2_lllS5_lllT3_llli.num_agpr, 0
	.set _ZL19rocblas_dgmm_kernelILi16ELi16ELb0EPK19rocblas_complex_numIdEPS1_EviiT2_lllS5_lllT3_llli.numbered_sgpr, 44
	.set _ZL19rocblas_dgmm_kernelILi16ELi16ELb0EPK19rocblas_complex_numIdEPS1_EviiT2_lllS5_lllT3_llli.num_named_barrier, 0
	.set _ZL19rocblas_dgmm_kernelILi16ELi16ELb0EPK19rocblas_complex_numIdEPS1_EviiT2_lllS5_lllT3_llli.private_seg_size, 0
	.set _ZL19rocblas_dgmm_kernelILi16ELi16ELb0EPK19rocblas_complex_numIdEPS1_EviiT2_lllS5_lllT3_llli.uses_vcc, 1
	.set _ZL19rocblas_dgmm_kernelILi16ELi16ELb0EPK19rocblas_complex_numIdEPS1_EviiT2_lllS5_lllT3_llli.uses_flat_scratch, 0
	.set _ZL19rocblas_dgmm_kernelILi16ELi16ELb0EPK19rocblas_complex_numIdEPS1_EviiT2_lllS5_lllT3_llli.has_dyn_sized_stack, 0
	.set _ZL19rocblas_dgmm_kernelILi16ELi16ELb0EPK19rocblas_complex_numIdEPS1_EviiT2_lllS5_lllT3_llli.has_recursion, 0
	.set _ZL19rocblas_dgmm_kernelILi16ELi16ELb0EPK19rocblas_complex_numIdEPS1_EviiT2_lllS5_lllT3_llli.has_indirect_call, 0
	.section	.AMDGPU.csdata,"",@progbits
; Kernel info:
; codeLenInByte = 484
; TotalNumSgprs: 48
; NumVgprs: 18
; ScratchSize: 0
; MemoryBound: 0
; FloatMode: 240
; IeeeMode: 1
; LDSByteSize: 0 bytes/workgroup (compile time only)
; SGPRBlocks: 5
; VGPRBlocks: 4
; NumSGPRsForWavesPerEU: 48
; NumVGPRsForWavesPerEU: 18
; Occupancy: 10
; WaveLimiterHint : 0
; COMPUTE_PGM_RSRC2:SCRATCH_EN: 0
; COMPUTE_PGM_RSRC2:USER_SGPR: 6
; COMPUTE_PGM_RSRC2:TRAP_HANDLER: 0
; COMPUTE_PGM_RSRC2:TGID_X_EN: 1
; COMPUTE_PGM_RSRC2:TGID_Y_EN: 1
; COMPUTE_PGM_RSRC2:TGID_Z_EN: 1
; COMPUTE_PGM_RSRC2:TIDIG_COMP_CNT: 1
	.section	.text._ZL26rocblas_dgmm_gfx942_kernelILi32ELi32ELb1EPK19rocblas_complex_numIdEPS1_EviiT2_lllS5_lllT3_lll,"axG",@progbits,_ZL26rocblas_dgmm_gfx942_kernelILi32ELi32ELb1EPK19rocblas_complex_numIdEPS1_EviiT2_lllS5_lllT3_lll,comdat
	.globl	_ZL26rocblas_dgmm_gfx942_kernelILi32ELi32ELb1EPK19rocblas_complex_numIdEPS1_EviiT2_lllS5_lllT3_lll ; -- Begin function _ZL26rocblas_dgmm_gfx942_kernelILi32ELi32ELb1EPK19rocblas_complex_numIdEPS1_EviiT2_lllS5_lllT3_lll
	.p2align	8
	.type	_ZL26rocblas_dgmm_gfx942_kernelILi32ELi32ELb1EPK19rocblas_complex_numIdEPS1_EviiT2_lllS5_lllT3_lll,@function
_ZL26rocblas_dgmm_gfx942_kernelILi32ELi32ELb1EPK19rocblas_complex_numIdEPS1_EviiT2_lllS5_lllT3_lll: ; @_ZL26rocblas_dgmm_gfx942_kernelILi32ELi32ELb1EPK19rocblas_complex_numIdEPS1_EviiT2_lllS5_lllT3_lll
; %bb.0:
	s_endpgm
	.section	.rodata,"a",@progbits
	.p2align	6, 0x0
	.amdhsa_kernel _ZL26rocblas_dgmm_gfx942_kernelILi32ELi32ELb1EPK19rocblas_complex_numIdEPS1_EviiT2_lllS5_lllT3_lll
		.amdhsa_group_segment_fixed_size 0
		.amdhsa_private_segment_fixed_size 0
		.amdhsa_kernarg_size 104
		.amdhsa_user_sgpr_count 6
		.amdhsa_user_sgpr_private_segment_buffer 1
		.amdhsa_user_sgpr_dispatch_ptr 0
		.amdhsa_user_sgpr_queue_ptr 0
		.amdhsa_user_sgpr_kernarg_segment_ptr 1
		.amdhsa_user_sgpr_dispatch_id 0
		.amdhsa_user_sgpr_flat_scratch_init 0
		.amdhsa_user_sgpr_private_segment_size 0
		.amdhsa_uses_dynamic_stack 0
		.amdhsa_system_sgpr_private_segment_wavefront_offset 0
		.amdhsa_system_sgpr_workgroup_id_x 1
		.amdhsa_system_sgpr_workgroup_id_y 0
		.amdhsa_system_sgpr_workgroup_id_z 0
		.amdhsa_system_sgpr_workgroup_info 0
		.amdhsa_system_vgpr_workitem_id 0
		.amdhsa_next_free_vgpr 1
		.amdhsa_next_free_sgpr 0
		.amdhsa_reserve_vcc 0
		.amdhsa_reserve_flat_scratch 0
		.amdhsa_float_round_mode_32 0
		.amdhsa_float_round_mode_16_64 0
		.amdhsa_float_denorm_mode_32 3
		.amdhsa_float_denorm_mode_16_64 3
		.amdhsa_dx10_clamp 1
		.amdhsa_ieee_mode 1
		.amdhsa_fp16_overflow 0
		.amdhsa_exception_fp_ieee_invalid_op 0
		.amdhsa_exception_fp_denorm_src 0
		.amdhsa_exception_fp_ieee_div_zero 0
		.amdhsa_exception_fp_ieee_overflow 0
		.amdhsa_exception_fp_ieee_underflow 0
		.amdhsa_exception_fp_ieee_inexact 0
		.amdhsa_exception_int_div_zero 0
	.end_amdhsa_kernel
	.section	.text._ZL26rocblas_dgmm_gfx942_kernelILi32ELi32ELb1EPK19rocblas_complex_numIdEPS1_EviiT2_lllS5_lllT3_lll,"axG",@progbits,_ZL26rocblas_dgmm_gfx942_kernelILi32ELi32ELb1EPK19rocblas_complex_numIdEPS1_EviiT2_lllS5_lllT3_lll,comdat
.Lfunc_end14:
	.size	_ZL26rocblas_dgmm_gfx942_kernelILi32ELi32ELb1EPK19rocblas_complex_numIdEPS1_EviiT2_lllS5_lllT3_lll, .Lfunc_end14-_ZL26rocblas_dgmm_gfx942_kernelILi32ELi32ELb1EPK19rocblas_complex_numIdEPS1_EviiT2_lllS5_lllT3_lll
                                        ; -- End function
	.set _ZL26rocblas_dgmm_gfx942_kernelILi32ELi32ELb1EPK19rocblas_complex_numIdEPS1_EviiT2_lllS5_lllT3_lll.num_vgpr, 0
	.set _ZL26rocblas_dgmm_gfx942_kernelILi32ELi32ELb1EPK19rocblas_complex_numIdEPS1_EviiT2_lllS5_lllT3_lll.num_agpr, 0
	.set _ZL26rocblas_dgmm_gfx942_kernelILi32ELi32ELb1EPK19rocblas_complex_numIdEPS1_EviiT2_lllS5_lllT3_lll.numbered_sgpr, 0
	.set _ZL26rocblas_dgmm_gfx942_kernelILi32ELi32ELb1EPK19rocblas_complex_numIdEPS1_EviiT2_lllS5_lllT3_lll.num_named_barrier, 0
	.set _ZL26rocblas_dgmm_gfx942_kernelILi32ELi32ELb1EPK19rocblas_complex_numIdEPS1_EviiT2_lllS5_lllT3_lll.private_seg_size, 0
	.set _ZL26rocblas_dgmm_gfx942_kernelILi32ELi32ELb1EPK19rocblas_complex_numIdEPS1_EviiT2_lllS5_lllT3_lll.uses_vcc, 0
	.set _ZL26rocblas_dgmm_gfx942_kernelILi32ELi32ELb1EPK19rocblas_complex_numIdEPS1_EviiT2_lllS5_lllT3_lll.uses_flat_scratch, 0
	.set _ZL26rocblas_dgmm_gfx942_kernelILi32ELi32ELb1EPK19rocblas_complex_numIdEPS1_EviiT2_lllS5_lllT3_lll.has_dyn_sized_stack, 0
	.set _ZL26rocblas_dgmm_gfx942_kernelILi32ELi32ELb1EPK19rocblas_complex_numIdEPS1_EviiT2_lllS5_lllT3_lll.has_recursion, 0
	.set _ZL26rocblas_dgmm_gfx942_kernelILi32ELi32ELb1EPK19rocblas_complex_numIdEPS1_EviiT2_lllS5_lllT3_lll.has_indirect_call, 0
	.section	.AMDGPU.csdata,"",@progbits
; Kernel info:
; codeLenInByte = 4
; TotalNumSgprs: 4
; NumVgprs: 0
; ScratchSize: 0
; MemoryBound: 0
; FloatMode: 240
; IeeeMode: 1
; LDSByteSize: 0 bytes/workgroup (compile time only)
; SGPRBlocks: 0
; VGPRBlocks: 0
; NumSGPRsForWavesPerEU: 4
; NumVGPRsForWavesPerEU: 1
; Occupancy: 10
; WaveLimiterHint : 0
; COMPUTE_PGM_RSRC2:SCRATCH_EN: 0
; COMPUTE_PGM_RSRC2:USER_SGPR: 6
; COMPUTE_PGM_RSRC2:TRAP_HANDLER: 0
; COMPUTE_PGM_RSRC2:TGID_X_EN: 1
; COMPUTE_PGM_RSRC2:TGID_Y_EN: 0
; COMPUTE_PGM_RSRC2:TGID_Z_EN: 0
; COMPUTE_PGM_RSRC2:TIDIG_COMP_CNT: 0
	.section	.text._ZL19rocblas_dgmm_kernelILi16ELi16ELb1EPK19rocblas_complex_numIdEPS1_EviiT2_lllS5_lllT3_llli,"axG",@progbits,_ZL19rocblas_dgmm_kernelILi16ELi16ELb1EPK19rocblas_complex_numIdEPS1_EviiT2_lllS5_lllT3_llli,comdat
	.globl	_ZL19rocblas_dgmm_kernelILi16ELi16ELb1EPK19rocblas_complex_numIdEPS1_EviiT2_lllS5_lllT3_llli ; -- Begin function _ZL19rocblas_dgmm_kernelILi16ELi16ELb1EPK19rocblas_complex_numIdEPS1_EviiT2_lllS5_lllT3_llli
	.p2align	8
	.type	_ZL19rocblas_dgmm_kernelILi16ELi16ELb1EPK19rocblas_complex_numIdEPS1_EviiT2_lllS5_lllT3_llli,@function
_ZL19rocblas_dgmm_kernelILi16ELi16ELb1EPK19rocblas_complex_numIdEPS1_EviiT2_lllS5_lllT3_llli: ; @_ZL19rocblas_dgmm_kernelILi16ELi16ELb1EPK19rocblas_complex_numIdEPS1_EviiT2_lllS5_lllT3_llli
; %bb.0:
	s_load_dwordx2 s[2:3], s[4:5], 0x0
	v_lshl_add_u32 v0, s6, 4, v0
	v_lshl_add_u32 v2, s7, 4, v1
	s_waitcnt lgkmcnt(0)
	v_cmp_gt_i32_e32 vcc, s2, v0
	v_cmp_gt_i32_e64 s[0:1], s3, v2
	s_and_b64 s[0:1], vcc, s[0:1]
	s_and_saveexec_b64 s[6:7], s[0:1]
	s_cbranch_execz .LBB15_3
; %bb.1:
	s_load_dwordx8 s[36:43], s[4:5], 0x48
	s_load_dwordx16 s[12:27], s[4:5], 0x8
	v_ashrrev_i32_e32 v1, 31, v0
	v_lshlrev_b64 v[3:4], 4, v[0:1]
	s_waitcnt lgkmcnt(0)
	s_lshl_b64 s[0:1], s[38:39], 4
	s_add_u32 s6, s36, s0
	s_addc_u32 s7, s37, s1
	s_lshl_b64 s[0:1], s[22:23], 4
	s_add_u32 s9, s20, s0
	s_addc_u32 s10, s21, s1
	s_lshl_b64 s[0:1], s[14:15], 4
	s_mul_i32 s2, s19, s8
	s_add_u32 s11, s12, s0
	s_mul_hi_u32 s0, s18, s8
	s_addc_u32 s12, s13, s1
	s_add_i32 s1, s0, s2
	s_mul_i32 s0, s18, s8
	s_lshl_b64 s[0:1], s[0:1], 4
	s_add_u32 s11, s11, s0
	s_addc_u32 s12, s12, s1
	s_mul_i32 s0, s27, s8
	s_mul_hi_u32 s1, s26, s8
	s_add_i32 s1, s1, s0
	s_mul_i32 s0, s26, s8
	s_lshl_b64 s[0:1], s[0:1], 4
	s_add_u32 s2, s9, s0
	s_addc_u32 s9, s10, s1
	s_mul_i32 s0, s43, s8
	s_mul_hi_u32 s1, s42, s8
	s_add_i32 s1, s1, s0
	s_mul_i32 s0, s42, s8
	s_lshl_b64 s[0:1], s[0:1], 4
	s_add_u32 s0, s6, s0
	s_addc_u32 s1, s7, s1
	v_mov_b32_e32 v5, s1
	s_load_dword s1, s[4:5], 0x74
	v_mov_b32_e32 v1, s12
	v_add_co_u32_e32 v0, vcc, s11, v3
	v_addc_co_u32_e32 v1, vcc, v1, v4, vcc
	v_add_co_u32_e32 v3, vcc, s0, v3
	v_addc_co_u32_e32 v4, vcc, v5, v4, vcc
	s_waitcnt lgkmcnt(0)
	s_lshl_b32 s4, s1, 4
	s_mov_b64 s[0:1], 0
	v_mov_b32_e32 v5, s9
.LBB15_2:                               ; =>This Inner Loop Header: Depth=1
	v_ashrrev_i32_e32 v18, 31, v2
	v_mul_lo_u32 v10, s17, v2
	v_mad_u64_u32 v[6:7], s[6:7], s16, v2, 0
	v_mul_lo_u32 v12, s16, v18
	v_mul_lo_u32 v11, s25, v2
	v_mad_u64_u32 v[8:9], s[6:7], s24, v2, 0
	v_mul_lo_u32 v13, s24, v18
	v_add3_u32 v7, v7, v12, v10
	v_lshlrev_b64 v[6:7], 4, v[6:7]
	v_add3_u32 v9, v9, v13, v11
	v_lshlrev_b64 v[8:9], 4, v[8:9]
	v_add_co_u32_e32 v14, vcc, v0, v6
	v_addc_co_u32_e32 v15, vcc, v1, v7, vcc
	v_add_co_u32_e32 v16, vcc, s2, v8
	v_addc_co_u32_e32 v17, vcc, v5, v9, vcc
	global_load_dwordx4 v[6:9], v[16:17], off
	global_load_dwordx4 v[10:13], v[14:15], off
	s_waitcnt vmcnt(0)
	v_mul_f64 v[14:15], v[8:9], v[12:13]
	v_mul_f64 v[12:13], v[6:7], v[12:13]
	v_fma_f64 v[6:7], v[6:7], v[10:11], -v[14:15]
	v_fma_f64 v[8:9], v[8:9], v[10:11], v[12:13]
	v_mul_lo_u32 v12, s41, v2
	v_mad_u64_u32 v[10:11], s[6:7], s40, v2, 0
	v_mul_lo_u32 v13, s40, v18
	v_add_u32_e32 v2, s4, v2
	v_cmp_le_i32_e32 vcc, s3, v2
	s_or_b64 s[0:1], vcc, s[0:1]
	v_add3_u32 v11, v11, v13, v12
	v_lshlrev_b64 v[10:11], 4, v[10:11]
	v_add_co_u32_e32 v10, vcc, v3, v10
	v_addc_co_u32_e32 v11, vcc, v4, v11, vcc
	global_store_dwordx4 v[10:11], v[6:9], off
	s_andn2_b64 exec, exec, s[0:1]
	s_cbranch_execnz .LBB15_2
.LBB15_3:
	s_endpgm
	.section	.rodata,"a",@progbits
	.p2align	6, 0x0
	.amdhsa_kernel _ZL19rocblas_dgmm_kernelILi16ELi16ELb1EPK19rocblas_complex_numIdEPS1_EviiT2_lllS5_lllT3_llli
		.amdhsa_group_segment_fixed_size 0
		.amdhsa_private_segment_fixed_size 0
		.amdhsa_kernarg_size 368
		.amdhsa_user_sgpr_count 6
		.amdhsa_user_sgpr_private_segment_buffer 1
		.amdhsa_user_sgpr_dispatch_ptr 0
		.amdhsa_user_sgpr_queue_ptr 0
		.amdhsa_user_sgpr_kernarg_segment_ptr 1
		.amdhsa_user_sgpr_dispatch_id 0
		.amdhsa_user_sgpr_flat_scratch_init 0
		.amdhsa_user_sgpr_private_segment_size 0
		.amdhsa_uses_dynamic_stack 0
		.amdhsa_system_sgpr_private_segment_wavefront_offset 0
		.amdhsa_system_sgpr_workgroup_id_x 1
		.amdhsa_system_sgpr_workgroup_id_y 1
		.amdhsa_system_sgpr_workgroup_id_z 1
		.amdhsa_system_sgpr_workgroup_info 0
		.amdhsa_system_vgpr_workitem_id 1
		.amdhsa_next_free_vgpr 19
		.amdhsa_next_free_sgpr 44
		.amdhsa_reserve_vcc 1
		.amdhsa_reserve_flat_scratch 0
		.amdhsa_float_round_mode_32 0
		.amdhsa_float_round_mode_16_64 0
		.amdhsa_float_denorm_mode_32 3
		.amdhsa_float_denorm_mode_16_64 3
		.amdhsa_dx10_clamp 1
		.amdhsa_ieee_mode 1
		.amdhsa_fp16_overflow 0
		.amdhsa_exception_fp_ieee_invalid_op 0
		.amdhsa_exception_fp_denorm_src 0
		.amdhsa_exception_fp_ieee_div_zero 0
		.amdhsa_exception_fp_ieee_overflow 0
		.amdhsa_exception_fp_ieee_underflow 0
		.amdhsa_exception_fp_ieee_inexact 0
		.amdhsa_exception_int_div_zero 0
	.end_amdhsa_kernel
	.section	.text._ZL19rocblas_dgmm_kernelILi16ELi16ELb1EPK19rocblas_complex_numIdEPS1_EviiT2_lllS5_lllT3_llli,"axG",@progbits,_ZL19rocblas_dgmm_kernelILi16ELi16ELb1EPK19rocblas_complex_numIdEPS1_EviiT2_lllS5_lllT3_llli,comdat
.Lfunc_end15:
	.size	_ZL19rocblas_dgmm_kernelILi16ELi16ELb1EPK19rocblas_complex_numIdEPS1_EviiT2_lllS5_lllT3_llli, .Lfunc_end15-_ZL19rocblas_dgmm_kernelILi16ELi16ELb1EPK19rocblas_complex_numIdEPS1_EviiT2_lllS5_lllT3_llli
                                        ; -- End function
	.set _ZL19rocblas_dgmm_kernelILi16ELi16ELb1EPK19rocblas_complex_numIdEPS1_EviiT2_lllS5_lllT3_llli.num_vgpr, 19
	.set _ZL19rocblas_dgmm_kernelILi16ELi16ELb1EPK19rocblas_complex_numIdEPS1_EviiT2_lllS5_lllT3_llli.num_agpr, 0
	.set _ZL19rocblas_dgmm_kernelILi16ELi16ELb1EPK19rocblas_complex_numIdEPS1_EviiT2_lllS5_lllT3_llli.numbered_sgpr, 44
	.set _ZL19rocblas_dgmm_kernelILi16ELi16ELb1EPK19rocblas_complex_numIdEPS1_EviiT2_lllS5_lllT3_llli.num_named_barrier, 0
	.set _ZL19rocblas_dgmm_kernelILi16ELi16ELb1EPK19rocblas_complex_numIdEPS1_EviiT2_lllS5_lllT3_llli.private_seg_size, 0
	.set _ZL19rocblas_dgmm_kernelILi16ELi16ELb1EPK19rocblas_complex_numIdEPS1_EviiT2_lllS5_lllT3_llli.uses_vcc, 1
	.set _ZL19rocblas_dgmm_kernelILi16ELi16ELb1EPK19rocblas_complex_numIdEPS1_EviiT2_lllS5_lllT3_llli.uses_flat_scratch, 0
	.set _ZL19rocblas_dgmm_kernelILi16ELi16ELb1EPK19rocblas_complex_numIdEPS1_EviiT2_lllS5_lllT3_llli.has_dyn_sized_stack, 0
	.set _ZL19rocblas_dgmm_kernelILi16ELi16ELb1EPK19rocblas_complex_numIdEPS1_EviiT2_lllS5_lllT3_llli.has_recursion, 0
	.set _ZL19rocblas_dgmm_kernelILi16ELi16ELb1EPK19rocblas_complex_numIdEPS1_EviiT2_lllS5_lllT3_llli.has_indirect_call, 0
	.section	.AMDGPU.csdata,"",@progbits
; Kernel info:
; codeLenInByte = 484
; TotalNumSgprs: 48
; NumVgprs: 19
; ScratchSize: 0
; MemoryBound: 0
; FloatMode: 240
; IeeeMode: 1
; LDSByteSize: 0 bytes/workgroup (compile time only)
; SGPRBlocks: 5
; VGPRBlocks: 4
; NumSGPRsForWavesPerEU: 48
; NumVGPRsForWavesPerEU: 19
; Occupancy: 10
; WaveLimiterHint : 0
; COMPUTE_PGM_RSRC2:SCRATCH_EN: 0
; COMPUTE_PGM_RSRC2:USER_SGPR: 6
; COMPUTE_PGM_RSRC2:TRAP_HANDLER: 0
; COMPUTE_PGM_RSRC2:TGID_X_EN: 1
; COMPUTE_PGM_RSRC2:TGID_Y_EN: 1
; COMPUTE_PGM_RSRC2:TGID_Z_EN: 1
; COMPUTE_PGM_RSRC2:TIDIG_COMP_CNT: 1
	.section	.text._ZL26rocblas_dgmm_gfx942_kernelILi32ELi32ELb0EPKPKfPKPfEviiT2_lllS7_lllT3_lll,"axG",@progbits,_ZL26rocblas_dgmm_gfx942_kernelILi32ELi32ELb0EPKPKfPKPfEviiT2_lllS7_lllT3_lll,comdat
	.globl	_ZL26rocblas_dgmm_gfx942_kernelILi32ELi32ELb0EPKPKfPKPfEviiT2_lllS7_lllT3_lll ; -- Begin function _ZL26rocblas_dgmm_gfx942_kernelILi32ELi32ELb0EPKPKfPKPfEviiT2_lllS7_lllT3_lll
	.p2align	8
	.type	_ZL26rocblas_dgmm_gfx942_kernelILi32ELi32ELb0EPKPKfPKPfEviiT2_lllS7_lllT3_lll,@function
_ZL26rocblas_dgmm_gfx942_kernelILi32ELi32ELb0EPKPKfPKPfEviiT2_lllS7_lllT3_lll: ; @_ZL26rocblas_dgmm_gfx942_kernelILi32ELi32ELb0EPKPKfPKPfEviiT2_lllS7_lllT3_lll
; %bb.0:
	s_endpgm
	.section	.rodata,"a",@progbits
	.p2align	6, 0x0
	.amdhsa_kernel _ZL26rocblas_dgmm_gfx942_kernelILi32ELi32ELb0EPKPKfPKPfEviiT2_lllS7_lllT3_lll
		.amdhsa_group_segment_fixed_size 0
		.amdhsa_private_segment_fixed_size 0
		.amdhsa_kernarg_size 104
		.amdhsa_user_sgpr_count 6
		.amdhsa_user_sgpr_private_segment_buffer 1
		.amdhsa_user_sgpr_dispatch_ptr 0
		.amdhsa_user_sgpr_queue_ptr 0
		.amdhsa_user_sgpr_kernarg_segment_ptr 1
		.amdhsa_user_sgpr_dispatch_id 0
		.amdhsa_user_sgpr_flat_scratch_init 0
		.amdhsa_user_sgpr_private_segment_size 0
		.amdhsa_uses_dynamic_stack 0
		.amdhsa_system_sgpr_private_segment_wavefront_offset 0
		.amdhsa_system_sgpr_workgroup_id_x 1
		.amdhsa_system_sgpr_workgroup_id_y 0
		.amdhsa_system_sgpr_workgroup_id_z 0
		.amdhsa_system_sgpr_workgroup_info 0
		.amdhsa_system_vgpr_workitem_id 0
		.amdhsa_next_free_vgpr 1
		.amdhsa_next_free_sgpr 0
		.amdhsa_reserve_vcc 0
		.amdhsa_reserve_flat_scratch 0
		.amdhsa_float_round_mode_32 0
		.amdhsa_float_round_mode_16_64 0
		.amdhsa_float_denorm_mode_32 3
		.amdhsa_float_denorm_mode_16_64 3
		.amdhsa_dx10_clamp 1
		.amdhsa_ieee_mode 1
		.amdhsa_fp16_overflow 0
		.amdhsa_exception_fp_ieee_invalid_op 0
		.amdhsa_exception_fp_denorm_src 0
		.amdhsa_exception_fp_ieee_div_zero 0
		.amdhsa_exception_fp_ieee_overflow 0
		.amdhsa_exception_fp_ieee_underflow 0
		.amdhsa_exception_fp_ieee_inexact 0
		.amdhsa_exception_int_div_zero 0
	.end_amdhsa_kernel
	.section	.text._ZL26rocblas_dgmm_gfx942_kernelILi32ELi32ELb0EPKPKfPKPfEviiT2_lllS7_lllT3_lll,"axG",@progbits,_ZL26rocblas_dgmm_gfx942_kernelILi32ELi32ELb0EPKPKfPKPfEviiT2_lllS7_lllT3_lll,comdat
.Lfunc_end16:
	.size	_ZL26rocblas_dgmm_gfx942_kernelILi32ELi32ELb0EPKPKfPKPfEviiT2_lllS7_lllT3_lll, .Lfunc_end16-_ZL26rocblas_dgmm_gfx942_kernelILi32ELi32ELb0EPKPKfPKPfEviiT2_lllS7_lllT3_lll
                                        ; -- End function
	.set _ZL26rocblas_dgmm_gfx942_kernelILi32ELi32ELb0EPKPKfPKPfEviiT2_lllS7_lllT3_lll.num_vgpr, 0
	.set _ZL26rocblas_dgmm_gfx942_kernelILi32ELi32ELb0EPKPKfPKPfEviiT2_lllS7_lllT3_lll.num_agpr, 0
	.set _ZL26rocblas_dgmm_gfx942_kernelILi32ELi32ELb0EPKPKfPKPfEviiT2_lllS7_lllT3_lll.numbered_sgpr, 0
	.set _ZL26rocblas_dgmm_gfx942_kernelILi32ELi32ELb0EPKPKfPKPfEviiT2_lllS7_lllT3_lll.num_named_barrier, 0
	.set _ZL26rocblas_dgmm_gfx942_kernelILi32ELi32ELb0EPKPKfPKPfEviiT2_lllS7_lllT3_lll.private_seg_size, 0
	.set _ZL26rocblas_dgmm_gfx942_kernelILi32ELi32ELb0EPKPKfPKPfEviiT2_lllS7_lllT3_lll.uses_vcc, 0
	.set _ZL26rocblas_dgmm_gfx942_kernelILi32ELi32ELb0EPKPKfPKPfEviiT2_lllS7_lllT3_lll.uses_flat_scratch, 0
	.set _ZL26rocblas_dgmm_gfx942_kernelILi32ELi32ELb0EPKPKfPKPfEviiT2_lllS7_lllT3_lll.has_dyn_sized_stack, 0
	.set _ZL26rocblas_dgmm_gfx942_kernelILi32ELi32ELb0EPKPKfPKPfEviiT2_lllS7_lllT3_lll.has_recursion, 0
	.set _ZL26rocblas_dgmm_gfx942_kernelILi32ELi32ELb0EPKPKfPKPfEviiT2_lllS7_lllT3_lll.has_indirect_call, 0
	.section	.AMDGPU.csdata,"",@progbits
; Kernel info:
; codeLenInByte = 4
; TotalNumSgprs: 4
; NumVgprs: 0
; ScratchSize: 0
; MemoryBound: 0
; FloatMode: 240
; IeeeMode: 1
; LDSByteSize: 0 bytes/workgroup (compile time only)
; SGPRBlocks: 0
; VGPRBlocks: 0
; NumSGPRsForWavesPerEU: 4
; NumVGPRsForWavesPerEU: 1
; Occupancy: 10
; WaveLimiterHint : 0
; COMPUTE_PGM_RSRC2:SCRATCH_EN: 0
; COMPUTE_PGM_RSRC2:USER_SGPR: 6
; COMPUTE_PGM_RSRC2:TRAP_HANDLER: 0
; COMPUTE_PGM_RSRC2:TGID_X_EN: 1
; COMPUTE_PGM_RSRC2:TGID_Y_EN: 0
; COMPUTE_PGM_RSRC2:TGID_Z_EN: 0
; COMPUTE_PGM_RSRC2:TIDIG_COMP_CNT: 0
	.section	.text._ZL19rocblas_dgmm_kernelILi16ELi16ELb0EPKPKfPKPfEviiT2_lllS7_lllT3_llli,"axG",@progbits,_ZL19rocblas_dgmm_kernelILi16ELi16ELb0EPKPKfPKPfEviiT2_lllS7_lllT3_llli,comdat
	.globl	_ZL19rocblas_dgmm_kernelILi16ELi16ELb0EPKPKfPKPfEviiT2_lllS7_lllT3_llli ; -- Begin function _ZL19rocblas_dgmm_kernelILi16ELi16ELb0EPKPKfPKPfEviiT2_lllS7_lllT3_llli
	.p2align	8
	.type	_ZL19rocblas_dgmm_kernelILi16ELi16ELb0EPKPKfPKPfEviiT2_lllS7_lllT3_llli,@function
_ZL19rocblas_dgmm_kernelILi16ELi16ELb0EPKPKfPKPfEviiT2_lllS7_lllT3_llli: ; @_ZL19rocblas_dgmm_kernelILi16ELi16ELb0EPKPKfPKPfEviiT2_lllS7_lllT3_llli
; %bb.0:
	s_load_dwordx2 s[2:3], s[4:5], 0x0
	v_lshl_add_u32 v0, s6, 4, v0
	v_lshl_add_u32 v2, s7, 4, v1
	s_waitcnt lgkmcnt(0)
	v_cmp_gt_i32_e32 vcc, s2, v0
	v_cmp_gt_i32_e64 s[0:1], s3, v2
	s_and_b64 s[0:1], vcc, s[0:1]
	s_and_saveexec_b64 s[6:7], s[0:1]
	s_cbranch_execz .LBB17_3
; %bb.1:
	s_load_dwordx4 s[12:15], s[4:5], 0x8
	s_load_dwordx2 s[0:1], s[4:5], 0x18
	s_mov_b32 s9, 0
	s_lshl_b64 s[16:17], s[8:9], 3
	v_ashrrev_i32_e32 v1, 31, v0
	s_waitcnt lgkmcnt(0)
	s_add_u32 s6, s12, s16
	s_addc_u32 s7, s13, s17
	s_load_dwordx2 s[12:13], s[6:7], 0x0
	s_load_dwordx4 s[8:11], s[4:5], 0x28
	s_load_dwordx2 s[18:19], s[4:5], 0x38
	s_lshl_b64 s[6:7], s[14:15], 2
	v_lshlrev_b64 v[5:6], 2, v[0:1]
	s_waitcnt lgkmcnt(0)
	s_add_u32 s2, s12, s6
	s_addc_u32 s22, s13, s7
	s_add_u32 s8, s8, s16
	s_addc_u32 s9, s9, s17
	s_load_dwordx2 s[20:21], s[8:9], 0x0
	s_load_dwordx2 s[6:7], s[4:5], 0x58
	s_load_dwordx4 s[12:15], s[4:5], 0x48
	s_lshl_b64 s[8:9], s[10:11], 2
	v_mul_lo_u32 v7, s19, v0
	s_waitcnt lgkmcnt(0)
	s_add_u32 s20, s20, s8
	s_addc_u32 s21, s21, s9
	s_add_u32 s8, s12, s16
	s_addc_u32 s9, s13, s17
	s_load_dwordx2 s[8:9], s[8:9], 0x0
	s_lshl_b64 s[10:11], s[14:15], 2
	v_mul_lo_u32 v8, s18, v1
	v_mov_b32_e32 v4, s22
	v_add_co_u32_e32 v3, vcc, s2, v5
	s_waitcnt lgkmcnt(0)
	s_add_u32 s10, s8, s10
	s_addc_u32 s11, s9, s11
	v_mad_u64_u32 v[0:1], s[8:9], s18, v0, 0
	s_load_dword s2, s[4:5], 0x74
	v_addc_co_u32_e32 v4, vcc, v4, v6, vcc
	v_add3_u32 v1, v1, v8, v7
	v_lshlrev_b64 v[0:1], 2, v[0:1]
	v_mov_b32_e32 v7, s21
	v_add_co_u32_e32 v0, vcc, s20, v0
	v_addc_co_u32_e32 v1, vcc, v7, v1, vcc
	v_mov_b32_e32 v7, s11
	v_add_co_u32_e32 v5, vcc, s10, v5
	v_addc_co_u32_e32 v6, vcc, v7, v6, vcc
	s_waitcnt lgkmcnt(0)
	s_lshl_b32 s2, s2, 4
	s_mov_b64 s[4:5], 0
.LBB17_2:                               ; =>This Inner Loop Header: Depth=1
	v_ashrrev_i32_e32 v9, 31, v2
	v_mul_lo_u32 v10, s1, v2
	v_mad_u64_u32 v[7:8], s[8:9], s0, v2, 0
	v_mul_lo_u32 v11, s0, v9
	flat_load_dword v12, v[0:1]
	v_mul_lo_u32 v9, s6, v9
	v_add3_u32 v8, v8, v11, v10
	v_lshlrev_b64 v[7:8], 2, v[7:8]
	v_mul_lo_u32 v11, s7, v2
	v_add_co_u32_e32 v7, vcc, v3, v7
	v_addc_co_u32_e32 v8, vcc, v4, v8, vcc
	flat_load_dword v10, v[7:8]
	v_mad_u64_u32 v[7:8], s[8:9], s6, v2, 0
	v_add_u32_e32 v2, s2, v2
	v_cmp_le_i32_e32 vcc, s3, v2
	v_add3_u32 v8, v8, v9, v11
	v_lshlrev_b64 v[7:8], 2, v[7:8]
	s_or_b64 s[4:5], vcc, s[4:5]
	v_add_co_u32_e32 v7, vcc, v5, v7
	v_addc_co_u32_e32 v8, vcc, v6, v8, vcc
	s_waitcnt vmcnt(0) lgkmcnt(0)
	v_mul_f32_e32 v9, v10, v12
	flat_store_dword v[7:8], v9
	s_andn2_b64 exec, exec, s[4:5]
	s_cbranch_execnz .LBB17_2
.LBB17_3:
	s_endpgm
	.section	.rodata,"a",@progbits
	.p2align	6, 0x0
	.amdhsa_kernel _ZL19rocblas_dgmm_kernelILi16ELi16ELb0EPKPKfPKPfEviiT2_lllS7_lllT3_llli
		.amdhsa_group_segment_fixed_size 0
		.amdhsa_private_segment_fixed_size 0
		.amdhsa_kernarg_size 368
		.amdhsa_user_sgpr_count 6
		.amdhsa_user_sgpr_private_segment_buffer 1
		.amdhsa_user_sgpr_dispatch_ptr 0
		.amdhsa_user_sgpr_queue_ptr 0
		.amdhsa_user_sgpr_kernarg_segment_ptr 1
		.amdhsa_user_sgpr_dispatch_id 0
		.amdhsa_user_sgpr_flat_scratch_init 0
		.amdhsa_user_sgpr_private_segment_size 0
		.amdhsa_uses_dynamic_stack 0
		.amdhsa_system_sgpr_private_segment_wavefront_offset 0
		.amdhsa_system_sgpr_workgroup_id_x 1
		.amdhsa_system_sgpr_workgroup_id_y 1
		.amdhsa_system_sgpr_workgroup_id_z 1
		.amdhsa_system_sgpr_workgroup_info 0
		.amdhsa_system_vgpr_workitem_id 1
		.amdhsa_next_free_vgpr 13
		.amdhsa_next_free_sgpr 23
		.amdhsa_reserve_vcc 1
		.amdhsa_reserve_flat_scratch 0
		.amdhsa_float_round_mode_32 0
		.amdhsa_float_round_mode_16_64 0
		.amdhsa_float_denorm_mode_32 3
		.amdhsa_float_denorm_mode_16_64 3
		.amdhsa_dx10_clamp 1
		.amdhsa_ieee_mode 1
		.amdhsa_fp16_overflow 0
		.amdhsa_exception_fp_ieee_invalid_op 0
		.amdhsa_exception_fp_denorm_src 0
		.amdhsa_exception_fp_ieee_div_zero 0
		.amdhsa_exception_fp_ieee_overflow 0
		.amdhsa_exception_fp_ieee_underflow 0
		.amdhsa_exception_fp_ieee_inexact 0
		.amdhsa_exception_int_div_zero 0
	.end_amdhsa_kernel
	.section	.text._ZL19rocblas_dgmm_kernelILi16ELi16ELb0EPKPKfPKPfEviiT2_lllS7_lllT3_llli,"axG",@progbits,_ZL19rocblas_dgmm_kernelILi16ELi16ELb0EPKPKfPKPfEviiT2_lllS7_lllT3_llli,comdat
.Lfunc_end17:
	.size	_ZL19rocblas_dgmm_kernelILi16ELi16ELb0EPKPKfPKPfEviiT2_lllS7_lllT3_llli, .Lfunc_end17-_ZL19rocblas_dgmm_kernelILi16ELi16ELb0EPKPKfPKPfEviiT2_lllS7_lllT3_llli
                                        ; -- End function
	.set _ZL19rocblas_dgmm_kernelILi16ELi16ELb0EPKPKfPKPfEviiT2_lllS7_lllT3_llli.num_vgpr, 13
	.set _ZL19rocblas_dgmm_kernelILi16ELi16ELb0EPKPKfPKPfEviiT2_lllS7_lllT3_llli.num_agpr, 0
	.set _ZL19rocblas_dgmm_kernelILi16ELi16ELb0EPKPKfPKPfEviiT2_lllS7_lllT3_llli.numbered_sgpr, 23
	.set _ZL19rocblas_dgmm_kernelILi16ELi16ELb0EPKPKfPKPfEviiT2_lllS7_lllT3_llli.num_named_barrier, 0
	.set _ZL19rocblas_dgmm_kernelILi16ELi16ELb0EPKPKfPKPfEviiT2_lllS7_lllT3_llli.private_seg_size, 0
	.set _ZL19rocblas_dgmm_kernelILi16ELi16ELb0EPKPKfPKPfEviiT2_lllS7_lllT3_llli.uses_vcc, 1
	.set _ZL19rocblas_dgmm_kernelILi16ELi16ELb0EPKPKfPKPfEviiT2_lllS7_lllT3_llli.uses_flat_scratch, 0
	.set _ZL19rocblas_dgmm_kernelILi16ELi16ELb0EPKPKfPKPfEviiT2_lllS7_lllT3_llli.has_dyn_sized_stack, 0
	.set _ZL19rocblas_dgmm_kernelILi16ELi16ELb0EPKPKfPKPfEviiT2_lllS7_lllT3_llli.has_recursion, 0
	.set _ZL19rocblas_dgmm_kernelILi16ELi16ELb0EPKPKfPKPfEviiT2_lllS7_lllT3_llli.has_indirect_call, 0
	.section	.AMDGPU.csdata,"",@progbits
; Kernel info:
; codeLenInByte = 472
; TotalNumSgprs: 27
; NumVgprs: 13
; ScratchSize: 0
; MemoryBound: 0
; FloatMode: 240
; IeeeMode: 1
; LDSByteSize: 0 bytes/workgroup (compile time only)
; SGPRBlocks: 3
; VGPRBlocks: 3
; NumSGPRsForWavesPerEU: 27
; NumVGPRsForWavesPerEU: 13
; Occupancy: 10
; WaveLimiterHint : 1
; COMPUTE_PGM_RSRC2:SCRATCH_EN: 0
; COMPUTE_PGM_RSRC2:USER_SGPR: 6
; COMPUTE_PGM_RSRC2:TRAP_HANDLER: 0
; COMPUTE_PGM_RSRC2:TGID_X_EN: 1
; COMPUTE_PGM_RSRC2:TGID_Y_EN: 1
; COMPUTE_PGM_RSRC2:TGID_Z_EN: 1
; COMPUTE_PGM_RSRC2:TIDIG_COMP_CNT: 1
	.section	.text._ZL26rocblas_dgmm_gfx942_kernelILi32ELi32ELb1EPKPKfPKPfEviiT2_lllS7_lllT3_lll,"axG",@progbits,_ZL26rocblas_dgmm_gfx942_kernelILi32ELi32ELb1EPKPKfPKPfEviiT2_lllS7_lllT3_lll,comdat
	.globl	_ZL26rocblas_dgmm_gfx942_kernelILi32ELi32ELb1EPKPKfPKPfEviiT2_lllS7_lllT3_lll ; -- Begin function _ZL26rocblas_dgmm_gfx942_kernelILi32ELi32ELb1EPKPKfPKPfEviiT2_lllS7_lllT3_lll
	.p2align	8
	.type	_ZL26rocblas_dgmm_gfx942_kernelILi32ELi32ELb1EPKPKfPKPfEviiT2_lllS7_lllT3_lll,@function
_ZL26rocblas_dgmm_gfx942_kernelILi32ELi32ELb1EPKPKfPKPfEviiT2_lllS7_lllT3_lll: ; @_ZL26rocblas_dgmm_gfx942_kernelILi32ELi32ELb1EPKPKfPKPfEviiT2_lllS7_lllT3_lll
; %bb.0:
	s_endpgm
	.section	.rodata,"a",@progbits
	.p2align	6, 0x0
	.amdhsa_kernel _ZL26rocblas_dgmm_gfx942_kernelILi32ELi32ELb1EPKPKfPKPfEviiT2_lllS7_lllT3_lll
		.amdhsa_group_segment_fixed_size 0
		.amdhsa_private_segment_fixed_size 0
		.amdhsa_kernarg_size 104
		.amdhsa_user_sgpr_count 6
		.amdhsa_user_sgpr_private_segment_buffer 1
		.amdhsa_user_sgpr_dispatch_ptr 0
		.amdhsa_user_sgpr_queue_ptr 0
		.amdhsa_user_sgpr_kernarg_segment_ptr 1
		.amdhsa_user_sgpr_dispatch_id 0
		.amdhsa_user_sgpr_flat_scratch_init 0
		.amdhsa_user_sgpr_private_segment_size 0
		.amdhsa_uses_dynamic_stack 0
		.amdhsa_system_sgpr_private_segment_wavefront_offset 0
		.amdhsa_system_sgpr_workgroup_id_x 1
		.amdhsa_system_sgpr_workgroup_id_y 0
		.amdhsa_system_sgpr_workgroup_id_z 0
		.amdhsa_system_sgpr_workgroup_info 0
		.amdhsa_system_vgpr_workitem_id 0
		.amdhsa_next_free_vgpr 1
		.amdhsa_next_free_sgpr 0
		.amdhsa_reserve_vcc 0
		.amdhsa_reserve_flat_scratch 0
		.amdhsa_float_round_mode_32 0
		.amdhsa_float_round_mode_16_64 0
		.amdhsa_float_denorm_mode_32 3
		.amdhsa_float_denorm_mode_16_64 3
		.amdhsa_dx10_clamp 1
		.amdhsa_ieee_mode 1
		.amdhsa_fp16_overflow 0
		.amdhsa_exception_fp_ieee_invalid_op 0
		.amdhsa_exception_fp_denorm_src 0
		.amdhsa_exception_fp_ieee_div_zero 0
		.amdhsa_exception_fp_ieee_overflow 0
		.amdhsa_exception_fp_ieee_underflow 0
		.amdhsa_exception_fp_ieee_inexact 0
		.amdhsa_exception_int_div_zero 0
	.end_amdhsa_kernel
	.section	.text._ZL26rocblas_dgmm_gfx942_kernelILi32ELi32ELb1EPKPKfPKPfEviiT2_lllS7_lllT3_lll,"axG",@progbits,_ZL26rocblas_dgmm_gfx942_kernelILi32ELi32ELb1EPKPKfPKPfEviiT2_lllS7_lllT3_lll,comdat
.Lfunc_end18:
	.size	_ZL26rocblas_dgmm_gfx942_kernelILi32ELi32ELb1EPKPKfPKPfEviiT2_lllS7_lllT3_lll, .Lfunc_end18-_ZL26rocblas_dgmm_gfx942_kernelILi32ELi32ELb1EPKPKfPKPfEviiT2_lllS7_lllT3_lll
                                        ; -- End function
	.set _ZL26rocblas_dgmm_gfx942_kernelILi32ELi32ELb1EPKPKfPKPfEviiT2_lllS7_lllT3_lll.num_vgpr, 0
	.set _ZL26rocblas_dgmm_gfx942_kernelILi32ELi32ELb1EPKPKfPKPfEviiT2_lllS7_lllT3_lll.num_agpr, 0
	.set _ZL26rocblas_dgmm_gfx942_kernelILi32ELi32ELb1EPKPKfPKPfEviiT2_lllS7_lllT3_lll.numbered_sgpr, 0
	.set _ZL26rocblas_dgmm_gfx942_kernelILi32ELi32ELb1EPKPKfPKPfEviiT2_lllS7_lllT3_lll.num_named_barrier, 0
	.set _ZL26rocblas_dgmm_gfx942_kernelILi32ELi32ELb1EPKPKfPKPfEviiT2_lllS7_lllT3_lll.private_seg_size, 0
	.set _ZL26rocblas_dgmm_gfx942_kernelILi32ELi32ELb1EPKPKfPKPfEviiT2_lllS7_lllT3_lll.uses_vcc, 0
	.set _ZL26rocblas_dgmm_gfx942_kernelILi32ELi32ELb1EPKPKfPKPfEviiT2_lllS7_lllT3_lll.uses_flat_scratch, 0
	.set _ZL26rocblas_dgmm_gfx942_kernelILi32ELi32ELb1EPKPKfPKPfEviiT2_lllS7_lllT3_lll.has_dyn_sized_stack, 0
	.set _ZL26rocblas_dgmm_gfx942_kernelILi32ELi32ELb1EPKPKfPKPfEviiT2_lllS7_lllT3_lll.has_recursion, 0
	.set _ZL26rocblas_dgmm_gfx942_kernelILi32ELi32ELb1EPKPKfPKPfEviiT2_lllS7_lllT3_lll.has_indirect_call, 0
	.section	.AMDGPU.csdata,"",@progbits
; Kernel info:
; codeLenInByte = 4
; TotalNumSgprs: 4
; NumVgprs: 0
; ScratchSize: 0
; MemoryBound: 0
; FloatMode: 240
; IeeeMode: 1
; LDSByteSize: 0 bytes/workgroup (compile time only)
; SGPRBlocks: 0
; VGPRBlocks: 0
; NumSGPRsForWavesPerEU: 4
; NumVGPRsForWavesPerEU: 1
; Occupancy: 10
; WaveLimiterHint : 0
; COMPUTE_PGM_RSRC2:SCRATCH_EN: 0
; COMPUTE_PGM_RSRC2:USER_SGPR: 6
; COMPUTE_PGM_RSRC2:TRAP_HANDLER: 0
; COMPUTE_PGM_RSRC2:TGID_X_EN: 1
; COMPUTE_PGM_RSRC2:TGID_Y_EN: 0
; COMPUTE_PGM_RSRC2:TGID_Z_EN: 0
; COMPUTE_PGM_RSRC2:TIDIG_COMP_CNT: 0
	.section	.text._ZL19rocblas_dgmm_kernelILi16ELi16ELb1EPKPKfPKPfEviiT2_lllS7_lllT3_llli,"axG",@progbits,_ZL19rocblas_dgmm_kernelILi16ELi16ELb1EPKPKfPKPfEviiT2_lllS7_lllT3_llli,comdat
	.globl	_ZL19rocblas_dgmm_kernelILi16ELi16ELb1EPKPKfPKPfEviiT2_lllS7_lllT3_llli ; -- Begin function _ZL19rocblas_dgmm_kernelILi16ELi16ELb1EPKPKfPKPfEviiT2_lllS7_lllT3_llli
	.p2align	8
	.type	_ZL19rocblas_dgmm_kernelILi16ELi16ELb1EPKPKfPKPfEviiT2_lllS7_lllT3_llli,@function
_ZL19rocblas_dgmm_kernelILi16ELi16ELb1EPKPKfPKPfEviiT2_lllS7_lllT3_llli: ; @_ZL19rocblas_dgmm_kernelILi16ELi16ELb1EPKPKfPKPfEviiT2_lllS7_lllT3_llli
; %bb.0:
	s_load_dwordx2 s[2:3], s[4:5], 0x0
	v_lshl_add_u32 v0, s6, 4, v0
	v_lshl_add_u32 v2, s7, 4, v1
	s_waitcnt lgkmcnt(0)
	v_cmp_gt_i32_e32 vcc, s2, v0
	v_cmp_gt_i32_e64 s[0:1], s3, v2
	s_and_b64 s[0:1], vcc, s[0:1]
	s_and_saveexec_b64 s[6:7], s[0:1]
	s_cbranch_execz .LBB19_3
; %bb.1:
	s_load_dwordx4 s[12:15], s[4:5], 0x8
	s_load_dwordx2 s[0:1], s[4:5], 0x18
	s_mov_b32 s9, 0
	s_lshl_b64 s[16:17], s[8:9], 3
	v_ashrrev_i32_e32 v1, 31, v0
	s_waitcnt lgkmcnt(0)
	s_add_u32 s12, s12, s16
	s_addc_u32 s13, s13, s17
	s_load_dwordx2 s[18:19], s[12:13], 0x0
	s_load_dwordx4 s[8:11], s[4:5], 0x28
	s_load_dwordx2 s[6:7], s[4:5], 0x38
	s_lshl_b64 s[12:13], s[14:15], 2
	v_lshlrev_b64 v[3:4], 2, v[0:1]
	s_waitcnt lgkmcnt(0)
	s_add_u32 s22, s18, s12
	s_addc_u32 s23, s19, s13
	s_add_u32 s18, s8, s16
	s_addc_u32 s19, s9, s17
	s_load_dwordx2 s[20:21], s[18:19], 0x0
	s_load_dwordx4 s[12:15], s[4:5], 0x48
	s_load_dwordx2 s[8:9], s[4:5], 0x58
	s_lshl_b64 s[10:11], s[10:11], 2
	s_load_dword s4, s[4:5], 0x74
	s_waitcnt lgkmcnt(0)
	s_add_u32 s2, s20, s10
	s_addc_u32 s18, s21, s11
	s_add_u32 s10, s12, s16
	s_addc_u32 s11, s13, s17
	s_load_dwordx2 s[10:11], s[10:11], 0x0
	s_lshl_b64 s[12:13], s[14:15], 2
	v_mov_b32_e32 v1, s23
	v_add_co_u32_e32 v0, vcc, s22, v3
	s_waitcnt lgkmcnt(0)
	s_add_u32 s10, s10, s12
	s_addc_u32 s11, s11, s13
	v_addc_co_u32_e32 v1, vcc, v1, v4, vcc
	v_mov_b32_e32 v5, s11
	v_add_co_u32_e32 v3, vcc, s10, v3
	v_addc_co_u32_e32 v4, vcc, v5, v4, vcc
	s_lshl_b32 s10, s4, 4
	s_mov_b64 s[4:5], 0
	v_mov_b32_e32 v5, s18
.LBB19_2:                               ; =>This Inner Loop Header: Depth=1
	v_ashrrev_i32_e32 v10, 31, v2
	v_mul_lo_u32 v11, s1, v2
	v_mad_u64_u32 v[6:7], s[12:13], s0, v2, 0
	v_mul_lo_u32 v13, s0, v10
	v_mul_lo_u32 v12, s7, v2
	v_mad_u64_u32 v[8:9], s[12:13], s6, v2, 0
	v_mul_lo_u32 v14, s6, v10
	v_add3_u32 v7, v7, v13, v11
	v_lshlrev_b64 v[6:7], 2, v[6:7]
	v_add3_u32 v9, v9, v14, v12
	v_lshlrev_b64 v[8:9], 2, v[8:9]
	v_add_co_u32_e32 v6, vcc, v0, v6
	v_addc_co_u32_e32 v7, vcc, v1, v7, vcc
	v_add_co_u32_e32 v8, vcc, s2, v8
	v_addc_co_u32_e32 v9, vcc, v5, v9, vcc
	flat_load_dword v11, v[6:7]
	flat_load_dword v12, v[8:9]
	v_mul_lo_u32 v8, s9, v2
	v_mad_u64_u32 v[6:7], s[12:13], s8, v2, 0
	v_mul_lo_u32 v9, s8, v10
	v_add_u32_e32 v2, s10, v2
	v_cmp_le_i32_e32 vcc, s3, v2
	s_or_b64 s[4:5], vcc, s[4:5]
	v_add3_u32 v7, v7, v9, v8
	v_lshlrev_b64 v[6:7], 2, v[6:7]
	v_add_co_u32_e32 v6, vcc, v3, v6
	v_addc_co_u32_e32 v7, vcc, v4, v7, vcc
	s_waitcnt vmcnt(0) lgkmcnt(0)
	v_mul_f32_e32 v8, v11, v12
	flat_store_dword v[6:7], v8
	s_andn2_b64 exec, exec, s[4:5]
	s_cbranch_execnz .LBB19_2
.LBB19_3:
	s_endpgm
	.section	.rodata,"a",@progbits
	.p2align	6, 0x0
	.amdhsa_kernel _ZL19rocblas_dgmm_kernelILi16ELi16ELb1EPKPKfPKPfEviiT2_lllS7_lllT3_llli
		.amdhsa_group_segment_fixed_size 0
		.amdhsa_private_segment_fixed_size 0
		.amdhsa_kernarg_size 368
		.amdhsa_user_sgpr_count 6
		.amdhsa_user_sgpr_private_segment_buffer 1
		.amdhsa_user_sgpr_dispatch_ptr 0
		.amdhsa_user_sgpr_queue_ptr 0
		.amdhsa_user_sgpr_kernarg_segment_ptr 1
		.amdhsa_user_sgpr_dispatch_id 0
		.amdhsa_user_sgpr_flat_scratch_init 0
		.amdhsa_user_sgpr_private_segment_size 0
		.amdhsa_uses_dynamic_stack 0
		.amdhsa_system_sgpr_private_segment_wavefront_offset 0
		.amdhsa_system_sgpr_workgroup_id_x 1
		.amdhsa_system_sgpr_workgroup_id_y 1
		.amdhsa_system_sgpr_workgroup_id_z 1
		.amdhsa_system_sgpr_workgroup_info 0
		.amdhsa_system_vgpr_workitem_id 1
		.amdhsa_next_free_vgpr 15
		.amdhsa_next_free_sgpr 24
		.amdhsa_reserve_vcc 1
		.amdhsa_reserve_flat_scratch 0
		.amdhsa_float_round_mode_32 0
		.amdhsa_float_round_mode_16_64 0
		.amdhsa_float_denorm_mode_32 3
		.amdhsa_float_denorm_mode_16_64 3
		.amdhsa_dx10_clamp 1
		.amdhsa_ieee_mode 1
		.amdhsa_fp16_overflow 0
		.amdhsa_exception_fp_ieee_invalid_op 0
		.amdhsa_exception_fp_denorm_src 0
		.amdhsa_exception_fp_ieee_div_zero 0
		.amdhsa_exception_fp_ieee_overflow 0
		.amdhsa_exception_fp_ieee_underflow 0
		.amdhsa_exception_fp_ieee_inexact 0
		.amdhsa_exception_int_div_zero 0
	.end_amdhsa_kernel
	.section	.text._ZL19rocblas_dgmm_kernelILi16ELi16ELb1EPKPKfPKPfEviiT2_lllS7_lllT3_llli,"axG",@progbits,_ZL19rocblas_dgmm_kernelILi16ELi16ELb1EPKPKfPKPfEviiT2_lllS7_lllT3_llli,comdat
.Lfunc_end19:
	.size	_ZL19rocblas_dgmm_kernelILi16ELi16ELb1EPKPKfPKPfEviiT2_lllS7_lllT3_llli, .Lfunc_end19-_ZL19rocblas_dgmm_kernelILi16ELi16ELb1EPKPKfPKPfEviiT2_lllS7_lllT3_llli
                                        ; -- End function
	.set _ZL19rocblas_dgmm_kernelILi16ELi16ELb1EPKPKfPKPfEviiT2_lllS7_lllT3_llli.num_vgpr, 15
	.set _ZL19rocblas_dgmm_kernelILi16ELi16ELb1EPKPKfPKPfEviiT2_lllS7_lllT3_llli.num_agpr, 0
	.set _ZL19rocblas_dgmm_kernelILi16ELi16ELb1EPKPKfPKPfEviiT2_lllS7_lllT3_llli.numbered_sgpr, 24
	.set _ZL19rocblas_dgmm_kernelILi16ELi16ELb1EPKPKfPKPfEviiT2_lllS7_lllT3_llli.num_named_barrier, 0
	.set _ZL19rocblas_dgmm_kernelILi16ELi16ELb1EPKPKfPKPfEviiT2_lllS7_lllT3_llli.private_seg_size, 0
	.set _ZL19rocblas_dgmm_kernelILi16ELi16ELb1EPKPKfPKPfEviiT2_lllS7_lllT3_llli.uses_vcc, 1
	.set _ZL19rocblas_dgmm_kernelILi16ELi16ELb1EPKPKfPKPfEviiT2_lllS7_lllT3_llli.uses_flat_scratch, 0
	.set _ZL19rocblas_dgmm_kernelILi16ELi16ELb1EPKPKfPKPfEviiT2_lllS7_lllT3_llli.has_dyn_sized_stack, 0
	.set _ZL19rocblas_dgmm_kernelILi16ELi16ELb1EPKPKfPKPfEviiT2_lllS7_lllT3_llli.has_recursion, 0
	.set _ZL19rocblas_dgmm_kernelILi16ELi16ELb1EPKPKfPKPfEviiT2_lllS7_lllT3_llli.has_indirect_call, 0
	.section	.AMDGPU.csdata,"",@progbits
; Kernel info:
; codeLenInByte = 468
; TotalNumSgprs: 28
; NumVgprs: 15
; ScratchSize: 0
; MemoryBound: 0
; FloatMode: 240
; IeeeMode: 1
; LDSByteSize: 0 bytes/workgroup (compile time only)
; SGPRBlocks: 3
; VGPRBlocks: 3
; NumSGPRsForWavesPerEU: 28
; NumVGPRsForWavesPerEU: 15
; Occupancy: 10
; WaveLimiterHint : 1
; COMPUTE_PGM_RSRC2:SCRATCH_EN: 0
; COMPUTE_PGM_RSRC2:USER_SGPR: 6
; COMPUTE_PGM_RSRC2:TRAP_HANDLER: 0
; COMPUTE_PGM_RSRC2:TGID_X_EN: 1
; COMPUTE_PGM_RSRC2:TGID_Y_EN: 1
; COMPUTE_PGM_RSRC2:TGID_Z_EN: 1
; COMPUTE_PGM_RSRC2:TIDIG_COMP_CNT: 1
	.section	.text._ZL26rocblas_dgmm_gfx942_kernelILi32ELi32ELb0EPKPKdPKPdEviiT2_lllS7_lllT3_lll,"axG",@progbits,_ZL26rocblas_dgmm_gfx942_kernelILi32ELi32ELb0EPKPKdPKPdEviiT2_lllS7_lllT3_lll,comdat
	.globl	_ZL26rocblas_dgmm_gfx942_kernelILi32ELi32ELb0EPKPKdPKPdEviiT2_lllS7_lllT3_lll ; -- Begin function _ZL26rocblas_dgmm_gfx942_kernelILi32ELi32ELb0EPKPKdPKPdEviiT2_lllS7_lllT3_lll
	.p2align	8
	.type	_ZL26rocblas_dgmm_gfx942_kernelILi32ELi32ELb0EPKPKdPKPdEviiT2_lllS7_lllT3_lll,@function
_ZL26rocblas_dgmm_gfx942_kernelILi32ELi32ELb0EPKPKdPKPdEviiT2_lllS7_lllT3_lll: ; @_ZL26rocblas_dgmm_gfx942_kernelILi32ELi32ELb0EPKPKdPKPdEviiT2_lllS7_lllT3_lll
; %bb.0:
	s_endpgm
	.section	.rodata,"a",@progbits
	.p2align	6, 0x0
	.amdhsa_kernel _ZL26rocblas_dgmm_gfx942_kernelILi32ELi32ELb0EPKPKdPKPdEviiT2_lllS7_lllT3_lll
		.amdhsa_group_segment_fixed_size 0
		.amdhsa_private_segment_fixed_size 0
		.amdhsa_kernarg_size 104
		.amdhsa_user_sgpr_count 6
		.amdhsa_user_sgpr_private_segment_buffer 1
		.amdhsa_user_sgpr_dispatch_ptr 0
		.amdhsa_user_sgpr_queue_ptr 0
		.amdhsa_user_sgpr_kernarg_segment_ptr 1
		.amdhsa_user_sgpr_dispatch_id 0
		.amdhsa_user_sgpr_flat_scratch_init 0
		.amdhsa_user_sgpr_private_segment_size 0
		.amdhsa_uses_dynamic_stack 0
		.amdhsa_system_sgpr_private_segment_wavefront_offset 0
		.amdhsa_system_sgpr_workgroup_id_x 1
		.amdhsa_system_sgpr_workgroup_id_y 0
		.amdhsa_system_sgpr_workgroup_id_z 0
		.amdhsa_system_sgpr_workgroup_info 0
		.amdhsa_system_vgpr_workitem_id 0
		.amdhsa_next_free_vgpr 1
		.amdhsa_next_free_sgpr 0
		.amdhsa_reserve_vcc 0
		.amdhsa_reserve_flat_scratch 0
		.amdhsa_float_round_mode_32 0
		.amdhsa_float_round_mode_16_64 0
		.amdhsa_float_denorm_mode_32 3
		.amdhsa_float_denorm_mode_16_64 3
		.amdhsa_dx10_clamp 1
		.amdhsa_ieee_mode 1
		.amdhsa_fp16_overflow 0
		.amdhsa_exception_fp_ieee_invalid_op 0
		.amdhsa_exception_fp_denorm_src 0
		.amdhsa_exception_fp_ieee_div_zero 0
		.amdhsa_exception_fp_ieee_overflow 0
		.amdhsa_exception_fp_ieee_underflow 0
		.amdhsa_exception_fp_ieee_inexact 0
		.amdhsa_exception_int_div_zero 0
	.end_amdhsa_kernel
	.section	.text._ZL26rocblas_dgmm_gfx942_kernelILi32ELi32ELb0EPKPKdPKPdEviiT2_lllS7_lllT3_lll,"axG",@progbits,_ZL26rocblas_dgmm_gfx942_kernelILi32ELi32ELb0EPKPKdPKPdEviiT2_lllS7_lllT3_lll,comdat
.Lfunc_end20:
	.size	_ZL26rocblas_dgmm_gfx942_kernelILi32ELi32ELb0EPKPKdPKPdEviiT2_lllS7_lllT3_lll, .Lfunc_end20-_ZL26rocblas_dgmm_gfx942_kernelILi32ELi32ELb0EPKPKdPKPdEviiT2_lllS7_lllT3_lll
                                        ; -- End function
	.set _ZL26rocblas_dgmm_gfx942_kernelILi32ELi32ELb0EPKPKdPKPdEviiT2_lllS7_lllT3_lll.num_vgpr, 0
	.set _ZL26rocblas_dgmm_gfx942_kernelILi32ELi32ELb0EPKPKdPKPdEviiT2_lllS7_lllT3_lll.num_agpr, 0
	.set _ZL26rocblas_dgmm_gfx942_kernelILi32ELi32ELb0EPKPKdPKPdEviiT2_lllS7_lllT3_lll.numbered_sgpr, 0
	.set _ZL26rocblas_dgmm_gfx942_kernelILi32ELi32ELb0EPKPKdPKPdEviiT2_lllS7_lllT3_lll.num_named_barrier, 0
	.set _ZL26rocblas_dgmm_gfx942_kernelILi32ELi32ELb0EPKPKdPKPdEviiT2_lllS7_lllT3_lll.private_seg_size, 0
	.set _ZL26rocblas_dgmm_gfx942_kernelILi32ELi32ELb0EPKPKdPKPdEviiT2_lllS7_lllT3_lll.uses_vcc, 0
	.set _ZL26rocblas_dgmm_gfx942_kernelILi32ELi32ELb0EPKPKdPKPdEviiT2_lllS7_lllT3_lll.uses_flat_scratch, 0
	.set _ZL26rocblas_dgmm_gfx942_kernelILi32ELi32ELb0EPKPKdPKPdEviiT2_lllS7_lllT3_lll.has_dyn_sized_stack, 0
	.set _ZL26rocblas_dgmm_gfx942_kernelILi32ELi32ELb0EPKPKdPKPdEviiT2_lllS7_lllT3_lll.has_recursion, 0
	.set _ZL26rocblas_dgmm_gfx942_kernelILi32ELi32ELb0EPKPKdPKPdEviiT2_lllS7_lllT3_lll.has_indirect_call, 0
	.section	.AMDGPU.csdata,"",@progbits
; Kernel info:
; codeLenInByte = 4
; TotalNumSgprs: 4
; NumVgprs: 0
; ScratchSize: 0
; MemoryBound: 0
; FloatMode: 240
; IeeeMode: 1
; LDSByteSize: 0 bytes/workgroup (compile time only)
; SGPRBlocks: 0
; VGPRBlocks: 0
; NumSGPRsForWavesPerEU: 4
; NumVGPRsForWavesPerEU: 1
; Occupancy: 10
; WaveLimiterHint : 0
; COMPUTE_PGM_RSRC2:SCRATCH_EN: 0
; COMPUTE_PGM_RSRC2:USER_SGPR: 6
; COMPUTE_PGM_RSRC2:TRAP_HANDLER: 0
; COMPUTE_PGM_RSRC2:TGID_X_EN: 1
; COMPUTE_PGM_RSRC2:TGID_Y_EN: 0
; COMPUTE_PGM_RSRC2:TGID_Z_EN: 0
; COMPUTE_PGM_RSRC2:TIDIG_COMP_CNT: 0
	.section	.text._ZL19rocblas_dgmm_kernelILi16ELi16ELb0EPKPKdPKPdEviiT2_lllS7_lllT3_llli,"axG",@progbits,_ZL19rocblas_dgmm_kernelILi16ELi16ELb0EPKPKdPKPdEviiT2_lllS7_lllT3_llli,comdat
	.globl	_ZL19rocblas_dgmm_kernelILi16ELi16ELb0EPKPKdPKPdEviiT2_lllS7_lllT3_llli ; -- Begin function _ZL19rocblas_dgmm_kernelILi16ELi16ELb0EPKPKdPKPdEviiT2_lllS7_lllT3_llli
	.p2align	8
	.type	_ZL19rocblas_dgmm_kernelILi16ELi16ELb0EPKPKdPKPdEviiT2_lllS7_lllT3_llli,@function
_ZL19rocblas_dgmm_kernelILi16ELi16ELb0EPKPKdPKPdEviiT2_lllS7_lllT3_llli: ; @_ZL19rocblas_dgmm_kernelILi16ELi16ELb0EPKPKdPKPdEviiT2_lllS7_lllT3_llli
; %bb.0:
	s_load_dwordx2 s[2:3], s[4:5], 0x0
	v_lshl_add_u32 v0, s6, 4, v0
	v_lshl_add_u32 v2, s7, 4, v1
	s_waitcnt lgkmcnt(0)
	v_cmp_gt_i32_e32 vcc, s2, v0
	v_cmp_gt_i32_e64 s[0:1], s3, v2
	s_and_b64 s[0:1], vcc, s[0:1]
	s_and_saveexec_b64 s[6:7], s[0:1]
	s_cbranch_execz .LBB21_3
; %bb.1:
	s_load_dwordx4 s[12:15], s[4:5], 0x8
	s_load_dwordx2 s[0:1], s[4:5], 0x18
	s_mov_b32 s9, 0
	s_lshl_b64 s[16:17], s[8:9], 3
	v_ashrrev_i32_e32 v1, 31, v0
	s_waitcnt lgkmcnt(0)
	s_add_u32 s6, s12, s16
	s_addc_u32 s7, s13, s17
	s_load_dwordx2 s[12:13], s[6:7], 0x0
	s_load_dwordx4 s[8:11], s[4:5], 0x28
	s_load_dwordx2 s[18:19], s[4:5], 0x38
	s_lshl_b64 s[6:7], s[14:15], 3
	v_lshlrev_b64 v[5:6], 3, v[0:1]
	s_waitcnt lgkmcnt(0)
	s_add_u32 s2, s12, s6
	s_addc_u32 s22, s13, s7
	s_add_u32 s8, s8, s16
	s_addc_u32 s9, s9, s17
	s_load_dwordx2 s[20:21], s[8:9], 0x0
	s_load_dwordx2 s[6:7], s[4:5], 0x58
	s_load_dwordx4 s[12:15], s[4:5], 0x48
	s_lshl_b64 s[8:9], s[10:11], 3
	v_mul_lo_u32 v7, s19, v0
	s_waitcnt lgkmcnt(0)
	s_add_u32 s20, s20, s8
	s_addc_u32 s21, s21, s9
	s_add_u32 s8, s12, s16
	s_addc_u32 s9, s13, s17
	s_load_dwordx2 s[8:9], s[8:9], 0x0
	s_lshl_b64 s[10:11], s[14:15], 3
	v_mul_lo_u32 v8, s18, v1
	v_mov_b32_e32 v4, s22
	v_add_co_u32_e32 v3, vcc, s2, v5
	s_waitcnt lgkmcnt(0)
	s_add_u32 s10, s8, s10
	s_addc_u32 s11, s9, s11
	v_mad_u64_u32 v[0:1], s[8:9], s18, v0, 0
	s_load_dword s2, s[4:5], 0x74
	v_addc_co_u32_e32 v4, vcc, v4, v6, vcc
	v_add3_u32 v1, v1, v8, v7
	v_lshlrev_b64 v[0:1], 3, v[0:1]
	v_mov_b32_e32 v7, s21
	v_add_co_u32_e32 v0, vcc, s20, v0
	v_addc_co_u32_e32 v1, vcc, v7, v1, vcc
	v_mov_b32_e32 v7, s11
	v_add_co_u32_e32 v5, vcc, s10, v5
	v_addc_co_u32_e32 v6, vcc, v7, v6, vcc
	s_waitcnt lgkmcnt(0)
	s_lshl_b32 s2, s2, 4
	s_mov_b64 s[4:5], 0
.LBB21_2:                               ; =>This Inner Loop Header: Depth=1
	v_ashrrev_i32_e32 v13, 31, v2
	v_mul_lo_u32 v11, s1, v2
	v_mad_u64_u32 v[7:8], s[8:9], s0, v2, 0
	v_mul_lo_u32 v12, s0, v13
	flat_load_dwordx2 v[9:10], v[0:1]
	v_mul_lo_u32 v14, s7, v2
	v_mul_lo_u32 v13, s6, v13
	v_add3_u32 v8, v8, v12, v11
	v_lshlrev_b64 v[7:8], 3, v[7:8]
	v_mad_u64_u32 v[11:12], s[8:9], s6, v2, 0
	v_add_co_u32_e32 v7, vcc, v3, v7
	v_addc_co_u32_e32 v8, vcc, v4, v8, vcc
	flat_load_dwordx2 v[7:8], v[7:8]
	v_add3_u32 v12, v12, v13, v14
	v_add_u32_e32 v2, s2, v2
	v_cmp_le_i32_e32 vcc, s3, v2
	s_or_b64 s[4:5], vcc, s[4:5]
	s_waitcnt vmcnt(0) lgkmcnt(0)
	v_mul_f64 v[7:8], v[7:8], v[9:10]
	v_lshlrev_b64 v[9:10], 3, v[11:12]
	v_add_co_u32_e32 v9, vcc, v5, v9
	v_addc_co_u32_e32 v10, vcc, v6, v10, vcc
	flat_store_dwordx2 v[9:10], v[7:8]
	s_andn2_b64 exec, exec, s[4:5]
	s_cbranch_execnz .LBB21_2
.LBB21_3:
	s_endpgm
	.section	.rodata,"a",@progbits
	.p2align	6, 0x0
	.amdhsa_kernel _ZL19rocblas_dgmm_kernelILi16ELi16ELb0EPKPKdPKPdEviiT2_lllS7_lllT3_llli
		.amdhsa_group_segment_fixed_size 0
		.amdhsa_private_segment_fixed_size 0
		.amdhsa_kernarg_size 368
		.amdhsa_user_sgpr_count 6
		.amdhsa_user_sgpr_private_segment_buffer 1
		.amdhsa_user_sgpr_dispatch_ptr 0
		.amdhsa_user_sgpr_queue_ptr 0
		.amdhsa_user_sgpr_kernarg_segment_ptr 1
		.amdhsa_user_sgpr_dispatch_id 0
		.amdhsa_user_sgpr_flat_scratch_init 0
		.amdhsa_user_sgpr_private_segment_size 0
		.amdhsa_uses_dynamic_stack 0
		.amdhsa_system_sgpr_private_segment_wavefront_offset 0
		.amdhsa_system_sgpr_workgroup_id_x 1
		.amdhsa_system_sgpr_workgroup_id_y 1
		.amdhsa_system_sgpr_workgroup_id_z 1
		.amdhsa_system_sgpr_workgroup_info 0
		.amdhsa_system_vgpr_workitem_id 1
		.amdhsa_next_free_vgpr 15
		.amdhsa_next_free_sgpr 23
		.amdhsa_reserve_vcc 1
		.amdhsa_reserve_flat_scratch 0
		.amdhsa_float_round_mode_32 0
		.amdhsa_float_round_mode_16_64 0
		.amdhsa_float_denorm_mode_32 3
		.amdhsa_float_denorm_mode_16_64 3
		.amdhsa_dx10_clamp 1
		.amdhsa_ieee_mode 1
		.amdhsa_fp16_overflow 0
		.amdhsa_exception_fp_ieee_invalid_op 0
		.amdhsa_exception_fp_denorm_src 0
		.amdhsa_exception_fp_ieee_div_zero 0
		.amdhsa_exception_fp_ieee_overflow 0
		.amdhsa_exception_fp_ieee_underflow 0
		.amdhsa_exception_fp_ieee_inexact 0
		.amdhsa_exception_int_div_zero 0
	.end_amdhsa_kernel
	.section	.text._ZL19rocblas_dgmm_kernelILi16ELi16ELb0EPKPKdPKPdEviiT2_lllS7_lllT3_llli,"axG",@progbits,_ZL19rocblas_dgmm_kernelILi16ELi16ELb0EPKPKdPKPdEviiT2_lllS7_lllT3_llli,comdat
.Lfunc_end21:
	.size	_ZL19rocblas_dgmm_kernelILi16ELi16ELb0EPKPKdPKPdEviiT2_lllS7_lllT3_llli, .Lfunc_end21-_ZL19rocblas_dgmm_kernelILi16ELi16ELb0EPKPKdPKPdEviiT2_lllS7_lllT3_llli
                                        ; -- End function
	.set _ZL19rocblas_dgmm_kernelILi16ELi16ELb0EPKPKdPKPdEviiT2_lllS7_lllT3_llli.num_vgpr, 15
	.set _ZL19rocblas_dgmm_kernelILi16ELi16ELb0EPKPKdPKPdEviiT2_lllS7_lllT3_llli.num_agpr, 0
	.set _ZL19rocblas_dgmm_kernelILi16ELi16ELb0EPKPKdPKPdEviiT2_lllS7_lllT3_llli.numbered_sgpr, 23
	.set _ZL19rocblas_dgmm_kernelILi16ELi16ELb0EPKPKdPKPdEviiT2_lllS7_lllT3_llli.num_named_barrier, 0
	.set _ZL19rocblas_dgmm_kernelILi16ELi16ELb0EPKPKdPKPdEviiT2_lllS7_lllT3_llli.private_seg_size, 0
	.set _ZL19rocblas_dgmm_kernelILi16ELi16ELb0EPKPKdPKPdEviiT2_lllS7_lllT3_llli.uses_vcc, 1
	.set _ZL19rocblas_dgmm_kernelILi16ELi16ELb0EPKPKdPKPdEviiT2_lllS7_lllT3_llli.uses_flat_scratch, 0
	.set _ZL19rocblas_dgmm_kernelILi16ELi16ELb0EPKPKdPKPdEviiT2_lllS7_lllT3_llli.has_dyn_sized_stack, 0
	.set _ZL19rocblas_dgmm_kernelILi16ELi16ELb0EPKPKdPKPdEviiT2_lllS7_lllT3_llli.has_recursion, 0
	.set _ZL19rocblas_dgmm_kernelILi16ELi16ELb0EPKPKdPKPdEviiT2_lllS7_lllT3_llli.has_indirect_call, 0
	.section	.AMDGPU.csdata,"",@progbits
; Kernel info:
; codeLenInByte = 476
; TotalNumSgprs: 27
; NumVgprs: 15
; ScratchSize: 0
; MemoryBound: 0
; FloatMode: 240
; IeeeMode: 1
; LDSByteSize: 0 bytes/workgroup (compile time only)
; SGPRBlocks: 3
; VGPRBlocks: 3
; NumSGPRsForWavesPerEU: 27
; NumVGPRsForWavesPerEU: 15
; Occupancy: 10
; WaveLimiterHint : 1
; COMPUTE_PGM_RSRC2:SCRATCH_EN: 0
; COMPUTE_PGM_RSRC2:USER_SGPR: 6
; COMPUTE_PGM_RSRC2:TRAP_HANDLER: 0
; COMPUTE_PGM_RSRC2:TGID_X_EN: 1
; COMPUTE_PGM_RSRC2:TGID_Y_EN: 1
; COMPUTE_PGM_RSRC2:TGID_Z_EN: 1
; COMPUTE_PGM_RSRC2:TIDIG_COMP_CNT: 1
	.section	.text._ZL26rocblas_dgmm_gfx942_kernelILi32ELi32ELb1EPKPKdPKPdEviiT2_lllS7_lllT3_lll,"axG",@progbits,_ZL26rocblas_dgmm_gfx942_kernelILi32ELi32ELb1EPKPKdPKPdEviiT2_lllS7_lllT3_lll,comdat
	.globl	_ZL26rocblas_dgmm_gfx942_kernelILi32ELi32ELb1EPKPKdPKPdEviiT2_lllS7_lllT3_lll ; -- Begin function _ZL26rocblas_dgmm_gfx942_kernelILi32ELi32ELb1EPKPKdPKPdEviiT2_lllS7_lllT3_lll
	.p2align	8
	.type	_ZL26rocblas_dgmm_gfx942_kernelILi32ELi32ELb1EPKPKdPKPdEviiT2_lllS7_lllT3_lll,@function
_ZL26rocblas_dgmm_gfx942_kernelILi32ELi32ELb1EPKPKdPKPdEviiT2_lllS7_lllT3_lll: ; @_ZL26rocblas_dgmm_gfx942_kernelILi32ELi32ELb1EPKPKdPKPdEviiT2_lllS7_lllT3_lll
; %bb.0:
	s_endpgm
	.section	.rodata,"a",@progbits
	.p2align	6, 0x0
	.amdhsa_kernel _ZL26rocblas_dgmm_gfx942_kernelILi32ELi32ELb1EPKPKdPKPdEviiT2_lllS7_lllT3_lll
		.amdhsa_group_segment_fixed_size 0
		.amdhsa_private_segment_fixed_size 0
		.amdhsa_kernarg_size 104
		.amdhsa_user_sgpr_count 6
		.amdhsa_user_sgpr_private_segment_buffer 1
		.amdhsa_user_sgpr_dispatch_ptr 0
		.amdhsa_user_sgpr_queue_ptr 0
		.amdhsa_user_sgpr_kernarg_segment_ptr 1
		.amdhsa_user_sgpr_dispatch_id 0
		.amdhsa_user_sgpr_flat_scratch_init 0
		.amdhsa_user_sgpr_private_segment_size 0
		.amdhsa_uses_dynamic_stack 0
		.amdhsa_system_sgpr_private_segment_wavefront_offset 0
		.amdhsa_system_sgpr_workgroup_id_x 1
		.amdhsa_system_sgpr_workgroup_id_y 0
		.amdhsa_system_sgpr_workgroup_id_z 0
		.amdhsa_system_sgpr_workgroup_info 0
		.amdhsa_system_vgpr_workitem_id 0
		.amdhsa_next_free_vgpr 1
		.amdhsa_next_free_sgpr 0
		.amdhsa_reserve_vcc 0
		.amdhsa_reserve_flat_scratch 0
		.amdhsa_float_round_mode_32 0
		.amdhsa_float_round_mode_16_64 0
		.amdhsa_float_denorm_mode_32 3
		.amdhsa_float_denorm_mode_16_64 3
		.amdhsa_dx10_clamp 1
		.amdhsa_ieee_mode 1
		.amdhsa_fp16_overflow 0
		.amdhsa_exception_fp_ieee_invalid_op 0
		.amdhsa_exception_fp_denorm_src 0
		.amdhsa_exception_fp_ieee_div_zero 0
		.amdhsa_exception_fp_ieee_overflow 0
		.amdhsa_exception_fp_ieee_underflow 0
		.amdhsa_exception_fp_ieee_inexact 0
		.amdhsa_exception_int_div_zero 0
	.end_amdhsa_kernel
	.section	.text._ZL26rocblas_dgmm_gfx942_kernelILi32ELi32ELb1EPKPKdPKPdEviiT2_lllS7_lllT3_lll,"axG",@progbits,_ZL26rocblas_dgmm_gfx942_kernelILi32ELi32ELb1EPKPKdPKPdEviiT2_lllS7_lllT3_lll,comdat
.Lfunc_end22:
	.size	_ZL26rocblas_dgmm_gfx942_kernelILi32ELi32ELb1EPKPKdPKPdEviiT2_lllS7_lllT3_lll, .Lfunc_end22-_ZL26rocblas_dgmm_gfx942_kernelILi32ELi32ELb1EPKPKdPKPdEviiT2_lllS7_lllT3_lll
                                        ; -- End function
	.set _ZL26rocblas_dgmm_gfx942_kernelILi32ELi32ELb1EPKPKdPKPdEviiT2_lllS7_lllT3_lll.num_vgpr, 0
	.set _ZL26rocblas_dgmm_gfx942_kernelILi32ELi32ELb1EPKPKdPKPdEviiT2_lllS7_lllT3_lll.num_agpr, 0
	.set _ZL26rocblas_dgmm_gfx942_kernelILi32ELi32ELb1EPKPKdPKPdEviiT2_lllS7_lllT3_lll.numbered_sgpr, 0
	.set _ZL26rocblas_dgmm_gfx942_kernelILi32ELi32ELb1EPKPKdPKPdEviiT2_lllS7_lllT3_lll.num_named_barrier, 0
	.set _ZL26rocblas_dgmm_gfx942_kernelILi32ELi32ELb1EPKPKdPKPdEviiT2_lllS7_lllT3_lll.private_seg_size, 0
	.set _ZL26rocblas_dgmm_gfx942_kernelILi32ELi32ELb1EPKPKdPKPdEviiT2_lllS7_lllT3_lll.uses_vcc, 0
	.set _ZL26rocblas_dgmm_gfx942_kernelILi32ELi32ELb1EPKPKdPKPdEviiT2_lllS7_lllT3_lll.uses_flat_scratch, 0
	.set _ZL26rocblas_dgmm_gfx942_kernelILi32ELi32ELb1EPKPKdPKPdEviiT2_lllS7_lllT3_lll.has_dyn_sized_stack, 0
	.set _ZL26rocblas_dgmm_gfx942_kernelILi32ELi32ELb1EPKPKdPKPdEviiT2_lllS7_lllT3_lll.has_recursion, 0
	.set _ZL26rocblas_dgmm_gfx942_kernelILi32ELi32ELb1EPKPKdPKPdEviiT2_lllS7_lllT3_lll.has_indirect_call, 0
	.section	.AMDGPU.csdata,"",@progbits
; Kernel info:
; codeLenInByte = 4
; TotalNumSgprs: 4
; NumVgprs: 0
; ScratchSize: 0
; MemoryBound: 0
; FloatMode: 240
; IeeeMode: 1
; LDSByteSize: 0 bytes/workgroup (compile time only)
; SGPRBlocks: 0
; VGPRBlocks: 0
; NumSGPRsForWavesPerEU: 4
; NumVGPRsForWavesPerEU: 1
; Occupancy: 10
; WaveLimiterHint : 0
; COMPUTE_PGM_RSRC2:SCRATCH_EN: 0
; COMPUTE_PGM_RSRC2:USER_SGPR: 6
; COMPUTE_PGM_RSRC2:TRAP_HANDLER: 0
; COMPUTE_PGM_RSRC2:TGID_X_EN: 1
; COMPUTE_PGM_RSRC2:TGID_Y_EN: 0
; COMPUTE_PGM_RSRC2:TGID_Z_EN: 0
; COMPUTE_PGM_RSRC2:TIDIG_COMP_CNT: 0
	.section	.text._ZL19rocblas_dgmm_kernelILi16ELi16ELb1EPKPKdPKPdEviiT2_lllS7_lllT3_llli,"axG",@progbits,_ZL19rocblas_dgmm_kernelILi16ELi16ELb1EPKPKdPKPdEviiT2_lllS7_lllT3_llli,comdat
	.globl	_ZL19rocblas_dgmm_kernelILi16ELi16ELb1EPKPKdPKPdEviiT2_lllS7_lllT3_llli ; -- Begin function _ZL19rocblas_dgmm_kernelILi16ELi16ELb1EPKPKdPKPdEviiT2_lllS7_lllT3_llli
	.p2align	8
	.type	_ZL19rocblas_dgmm_kernelILi16ELi16ELb1EPKPKdPKPdEviiT2_lllS7_lllT3_llli,@function
_ZL19rocblas_dgmm_kernelILi16ELi16ELb1EPKPKdPKPdEviiT2_lllS7_lllT3_llli: ; @_ZL19rocblas_dgmm_kernelILi16ELi16ELb1EPKPKdPKPdEviiT2_lllS7_lllT3_llli
; %bb.0:
	s_load_dwordx2 s[2:3], s[4:5], 0x0
	v_lshl_add_u32 v0, s6, 4, v0
	v_lshl_add_u32 v2, s7, 4, v1
	s_waitcnt lgkmcnt(0)
	v_cmp_gt_i32_e32 vcc, s2, v0
	v_cmp_gt_i32_e64 s[0:1], s3, v2
	s_and_b64 s[0:1], vcc, s[0:1]
	s_and_saveexec_b64 s[6:7], s[0:1]
	s_cbranch_execz .LBB23_3
; %bb.1:
	s_load_dwordx4 s[12:15], s[4:5], 0x8
	s_load_dwordx2 s[0:1], s[4:5], 0x18
	s_mov_b32 s9, 0
	s_lshl_b64 s[16:17], s[8:9], 3
	v_ashrrev_i32_e32 v1, 31, v0
	s_waitcnt lgkmcnt(0)
	s_add_u32 s12, s12, s16
	s_addc_u32 s13, s13, s17
	s_load_dwordx2 s[18:19], s[12:13], 0x0
	s_load_dwordx4 s[8:11], s[4:5], 0x28
	s_load_dwordx2 s[6:7], s[4:5], 0x38
	s_lshl_b64 s[12:13], s[14:15], 3
	v_lshlrev_b64 v[3:4], 3, v[0:1]
	s_waitcnt lgkmcnt(0)
	s_add_u32 s22, s18, s12
	s_addc_u32 s23, s19, s13
	s_add_u32 s18, s8, s16
	s_addc_u32 s19, s9, s17
	s_load_dwordx2 s[20:21], s[18:19], 0x0
	s_load_dwordx4 s[12:15], s[4:5], 0x48
	s_load_dwordx2 s[8:9], s[4:5], 0x58
	s_lshl_b64 s[10:11], s[10:11], 3
	s_load_dword s4, s[4:5], 0x74
	s_waitcnt lgkmcnt(0)
	s_add_u32 s2, s20, s10
	s_addc_u32 s18, s21, s11
	s_add_u32 s10, s12, s16
	s_addc_u32 s11, s13, s17
	s_load_dwordx2 s[10:11], s[10:11], 0x0
	s_lshl_b64 s[12:13], s[14:15], 3
	v_mov_b32_e32 v1, s23
	v_add_co_u32_e32 v0, vcc, s22, v3
	s_waitcnt lgkmcnt(0)
	s_add_u32 s10, s10, s12
	s_addc_u32 s11, s11, s13
	v_addc_co_u32_e32 v1, vcc, v1, v4, vcc
	v_mov_b32_e32 v5, s11
	v_add_co_u32_e32 v3, vcc, s10, v3
	v_addc_co_u32_e32 v4, vcc, v5, v4, vcc
	s_lshl_b32 s10, s4, 4
	s_mov_b64 s[4:5], 0
	v_mov_b32_e32 v5, s18
.LBB23_2:                               ; =>This Inner Loop Header: Depth=1
	v_ashrrev_i32_e32 v14, 31, v2
	v_mul_lo_u32 v10, s1, v2
	v_mad_u64_u32 v[6:7], s[12:13], s0, v2, 0
	v_mul_lo_u32 v12, s0, v14
	v_mul_lo_u32 v11, s7, v2
	v_mad_u64_u32 v[8:9], s[12:13], s6, v2, 0
	v_mul_lo_u32 v13, s6, v14
	v_add3_u32 v7, v7, v12, v10
	v_lshlrev_b64 v[6:7], 3, v[6:7]
	v_mul_lo_u32 v15, s9, v2
	v_add3_u32 v9, v9, v13, v11
	v_lshlrev_b64 v[8:9], 3, v[8:9]
	v_add_co_u32_e32 v6, vcc, v0, v6
	v_addc_co_u32_e32 v7, vcc, v1, v7, vcc
	v_add_co_u32_e32 v8, vcc, s2, v8
	v_addc_co_u32_e32 v9, vcc, v5, v9, vcc
	flat_load_dwordx2 v[10:11], v[6:7]
	flat_load_dwordx2 v[12:13], v[8:9]
	v_mad_u64_u32 v[6:7], s[12:13], s8, v2, 0
	v_mul_lo_u32 v14, s8, v14
	v_add_u32_e32 v2, s10, v2
	v_cmp_le_i32_e32 vcc, s3, v2
	s_or_b64 s[4:5], vcc, s[4:5]
	v_add3_u32 v7, v7, v14, v15
	v_lshlrev_b64 v[6:7], 3, v[6:7]
	v_add_co_u32_e32 v6, vcc, v3, v6
	v_addc_co_u32_e32 v7, vcc, v4, v7, vcc
	s_waitcnt vmcnt(0) lgkmcnt(0)
	v_mul_f64 v[8:9], v[10:11], v[12:13]
	flat_store_dwordx2 v[6:7], v[8:9]
	s_andn2_b64 exec, exec, s[4:5]
	s_cbranch_execnz .LBB23_2
.LBB23_3:
	s_endpgm
	.section	.rodata,"a",@progbits
	.p2align	6, 0x0
	.amdhsa_kernel _ZL19rocblas_dgmm_kernelILi16ELi16ELb1EPKPKdPKPdEviiT2_lllS7_lllT3_llli
		.amdhsa_group_segment_fixed_size 0
		.amdhsa_private_segment_fixed_size 0
		.amdhsa_kernarg_size 368
		.amdhsa_user_sgpr_count 6
		.amdhsa_user_sgpr_private_segment_buffer 1
		.amdhsa_user_sgpr_dispatch_ptr 0
		.amdhsa_user_sgpr_queue_ptr 0
		.amdhsa_user_sgpr_kernarg_segment_ptr 1
		.amdhsa_user_sgpr_dispatch_id 0
		.amdhsa_user_sgpr_flat_scratch_init 0
		.amdhsa_user_sgpr_private_segment_size 0
		.amdhsa_uses_dynamic_stack 0
		.amdhsa_system_sgpr_private_segment_wavefront_offset 0
		.amdhsa_system_sgpr_workgroup_id_x 1
		.amdhsa_system_sgpr_workgroup_id_y 1
		.amdhsa_system_sgpr_workgroup_id_z 1
		.amdhsa_system_sgpr_workgroup_info 0
		.amdhsa_system_vgpr_workitem_id 1
		.amdhsa_next_free_vgpr 16
		.amdhsa_next_free_sgpr 24
		.amdhsa_reserve_vcc 1
		.amdhsa_reserve_flat_scratch 0
		.amdhsa_float_round_mode_32 0
		.amdhsa_float_round_mode_16_64 0
		.amdhsa_float_denorm_mode_32 3
		.amdhsa_float_denorm_mode_16_64 3
		.amdhsa_dx10_clamp 1
		.amdhsa_ieee_mode 1
		.amdhsa_fp16_overflow 0
		.amdhsa_exception_fp_ieee_invalid_op 0
		.amdhsa_exception_fp_denorm_src 0
		.amdhsa_exception_fp_ieee_div_zero 0
		.amdhsa_exception_fp_ieee_overflow 0
		.amdhsa_exception_fp_ieee_underflow 0
		.amdhsa_exception_fp_ieee_inexact 0
		.amdhsa_exception_int_div_zero 0
	.end_amdhsa_kernel
	.section	.text._ZL19rocblas_dgmm_kernelILi16ELi16ELb1EPKPKdPKPdEviiT2_lllS7_lllT3_llli,"axG",@progbits,_ZL19rocblas_dgmm_kernelILi16ELi16ELb1EPKPKdPKPdEviiT2_lllS7_lllT3_llli,comdat
.Lfunc_end23:
	.size	_ZL19rocblas_dgmm_kernelILi16ELi16ELb1EPKPKdPKPdEviiT2_lllS7_lllT3_llli, .Lfunc_end23-_ZL19rocblas_dgmm_kernelILi16ELi16ELb1EPKPKdPKPdEviiT2_lllS7_lllT3_llli
                                        ; -- End function
	.set _ZL19rocblas_dgmm_kernelILi16ELi16ELb1EPKPKdPKPdEviiT2_lllS7_lllT3_llli.num_vgpr, 16
	.set _ZL19rocblas_dgmm_kernelILi16ELi16ELb1EPKPKdPKPdEviiT2_lllS7_lllT3_llli.num_agpr, 0
	.set _ZL19rocblas_dgmm_kernelILi16ELi16ELb1EPKPKdPKPdEviiT2_lllS7_lllT3_llli.numbered_sgpr, 24
	.set _ZL19rocblas_dgmm_kernelILi16ELi16ELb1EPKPKdPKPdEviiT2_lllS7_lllT3_llli.num_named_barrier, 0
	.set _ZL19rocblas_dgmm_kernelILi16ELi16ELb1EPKPKdPKPdEviiT2_lllS7_lllT3_llli.private_seg_size, 0
	.set _ZL19rocblas_dgmm_kernelILi16ELi16ELb1EPKPKdPKPdEviiT2_lllS7_lllT3_llli.uses_vcc, 1
	.set _ZL19rocblas_dgmm_kernelILi16ELi16ELb1EPKPKdPKPdEviiT2_lllS7_lllT3_llli.uses_flat_scratch, 0
	.set _ZL19rocblas_dgmm_kernelILi16ELi16ELb1EPKPKdPKPdEviiT2_lllS7_lllT3_llli.has_dyn_sized_stack, 0
	.set _ZL19rocblas_dgmm_kernelILi16ELi16ELb1EPKPKdPKPdEviiT2_lllS7_lllT3_llli.has_recursion, 0
	.set _ZL19rocblas_dgmm_kernelILi16ELi16ELb1EPKPKdPKPdEviiT2_lllS7_lllT3_llli.has_indirect_call, 0
	.section	.AMDGPU.csdata,"",@progbits
; Kernel info:
; codeLenInByte = 472
; TotalNumSgprs: 28
; NumVgprs: 16
; ScratchSize: 0
; MemoryBound: 0
; FloatMode: 240
; IeeeMode: 1
; LDSByteSize: 0 bytes/workgroup (compile time only)
; SGPRBlocks: 3
; VGPRBlocks: 3
; NumSGPRsForWavesPerEU: 28
; NumVGPRsForWavesPerEU: 16
; Occupancy: 10
; WaveLimiterHint : 1
; COMPUTE_PGM_RSRC2:SCRATCH_EN: 0
; COMPUTE_PGM_RSRC2:USER_SGPR: 6
; COMPUTE_PGM_RSRC2:TRAP_HANDLER: 0
; COMPUTE_PGM_RSRC2:TGID_X_EN: 1
; COMPUTE_PGM_RSRC2:TGID_Y_EN: 1
; COMPUTE_PGM_RSRC2:TGID_Z_EN: 1
; COMPUTE_PGM_RSRC2:TIDIG_COMP_CNT: 1
	.section	.text._ZL26rocblas_dgmm_gfx942_kernelILi32ELi32ELb0EPKPK19rocblas_complex_numIfEPKPS1_EviiT2_lllS9_lllT3_lll,"axG",@progbits,_ZL26rocblas_dgmm_gfx942_kernelILi32ELi32ELb0EPKPK19rocblas_complex_numIfEPKPS1_EviiT2_lllS9_lllT3_lll,comdat
	.globl	_ZL26rocblas_dgmm_gfx942_kernelILi32ELi32ELb0EPKPK19rocblas_complex_numIfEPKPS1_EviiT2_lllS9_lllT3_lll ; -- Begin function _ZL26rocblas_dgmm_gfx942_kernelILi32ELi32ELb0EPKPK19rocblas_complex_numIfEPKPS1_EviiT2_lllS9_lllT3_lll
	.p2align	8
	.type	_ZL26rocblas_dgmm_gfx942_kernelILi32ELi32ELb0EPKPK19rocblas_complex_numIfEPKPS1_EviiT2_lllS9_lllT3_lll,@function
_ZL26rocblas_dgmm_gfx942_kernelILi32ELi32ELb0EPKPK19rocblas_complex_numIfEPKPS1_EviiT2_lllS9_lllT3_lll: ; @_ZL26rocblas_dgmm_gfx942_kernelILi32ELi32ELb0EPKPK19rocblas_complex_numIfEPKPS1_EviiT2_lllS9_lllT3_lll
; %bb.0:
	s_endpgm
	.section	.rodata,"a",@progbits
	.p2align	6, 0x0
	.amdhsa_kernel _ZL26rocblas_dgmm_gfx942_kernelILi32ELi32ELb0EPKPK19rocblas_complex_numIfEPKPS1_EviiT2_lllS9_lllT3_lll
		.amdhsa_group_segment_fixed_size 0
		.amdhsa_private_segment_fixed_size 0
		.amdhsa_kernarg_size 104
		.amdhsa_user_sgpr_count 6
		.amdhsa_user_sgpr_private_segment_buffer 1
		.amdhsa_user_sgpr_dispatch_ptr 0
		.amdhsa_user_sgpr_queue_ptr 0
		.amdhsa_user_sgpr_kernarg_segment_ptr 1
		.amdhsa_user_sgpr_dispatch_id 0
		.amdhsa_user_sgpr_flat_scratch_init 0
		.amdhsa_user_sgpr_private_segment_size 0
		.amdhsa_uses_dynamic_stack 0
		.amdhsa_system_sgpr_private_segment_wavefront_offset 0
		.amdhsa_system_sgpr_workgroup_id_x 1
		.amdhsa_system_sgpr_workgroup_id_y 0
		.amdhsa_system_sgpr_workgroup_id_z 0
		.amdhsa_system_sgpr_workgroup_info 0
		.amdhsa_system_vgpr_workitem_id 0
		.amdhsa_next_free_vgpr 1
		.amdhsa_next_free_sgpr 0
		.amdhsa_reserve_vcc 0
		.amdhsa_reserve_flat_scratch 0
		.amdhsa_float_round_mode_32 0
		.amdhsa_float_round_mode_16_64 0
		.amdhsa_float_denorm_mode_32 3
		.amdhsa_float_denorm_mode_16_64 3
		.amdhsa_dx10_clamp 1
		.amdhsa_ieee_mode 1
		.amdhsa_fp16_overflow 0
		.amdhsa_exception_fp_ieee_invalid_op 0
		.amdhsa_exception_fp_denorm_src 0
		.amdhsa_exception_fp_ieee_div_zero 0
		.amdhsa_exception_fp_ieee_overflow 0
		.amdhsa_exception_fp_ieee_underflow 0
		.amdhsa_exception_fp_ieee_inexact 0
		.amdhsa_exception_int_div_zero 0
	.end_amdhsa_kernel
	.section	.text._ZL26rocblas_dgmm_gfx942_kernelILi32ELi32ELb0EPKPK19rocblas_complex_numIfEPKPS1_EviiT2_lllS9_lllT3_lll,"axG",@progbits,_ZL26rocblas_dgmm_gfx942_kernelILi32ELi32ELb0EPKPK19rocblas_complex_numIfEPKPS1_EviiT2_lllS9_lllT3_lll,comdat
.Lfunc_end24:
	.size	_ZL26rocblas_dgmm_gfx942_kernelILi32ELi32ELb0EPKPK19rocblas_complex_numIfEPKPS1_EviiT2_lllS9_lllT3_lll, .Lfunc_end24-_ZL26rocblas_dgmm_gfx942_kernelILi32ELi32ELb0EPKPK19rocblas_complex_numIfEPKPS1_EviiT2_lllS9_lllT3_lll
                                        ; -- End function
	.set _ZL26rocblas_dgmm_gfx942_kernelILi32ELi32ELb0EPKPK19rocblas_complex_numIfEPKPS1_EviiT2_lllS9_lllT3_lll.num_vgpr, 0
	.set _ZL26rocblas_dgmm_gfx942_kernelILi32ELi32ELb0EPKPK19rocblas_complex_numIfEPKPS1_EviiT2_lllS9_lllT3_lll.num_agpr, 0
	.set _ZL26rocblas_dgmm_gfx942_kernelILi32ELi32ELb0EPKPK19rocblas_complex_numIfEPKPS1_EviiT2_lllS9_lllT3_lll.numbered_sgpr, 0
	.set _ZL26rocblas_dgmm_gfx942_kernelILi32ELi32ELb0EPKPK19rocblas_complex_numIfEPKPS1_EviiT2_lllS9_lllT3_lll.num_named_barrier, 0
	.set _ZL26rocblas_dgmm_gfx942_kernelILi32ELi32ELb0EPKPK19rocblas_complex_numIfEPKPS1_EviiT2_lllS9_lllT3_lll.private_seg_size, 0
	.set _ZL26rocblas_dgmm_gfx942_kernelILi32ELi32ELb0EPKPK19rocblas_complex_numIfEPKPS1_EviiT2_lllS9_lllT3_lll.uses_vcc, 0
	.set _ZL26rocblas_dgmm_gfx942_kernelILi32ELi32ELb0EPKPK19rocblas_complex_numIfEPKPS1_EviiT2_lllS9_lllT3_lll.uses_flat_scratch, 0
	.set _ZL26rocblas_dgmm_gfx942_kernelILi32ELi32ELb0EPKPK19rocblas_complex_numIfEPKPS1_EviiT2_lllS9_lllT3_lll.has_dyn_sized_stack, 0
	.set _ZL26rocblas_dgmm_gfx942_kernelILi32ELi32ELb0EPKPK19rocblas_complex_numIfEPKPS1_EviiT2_lllS9_lllT3_lll.has_recursion, 0
	.set _ZL26rocblas_dgmm_gfx942_kernelILi32ELi32ELb0EPKPK19rocblas_complex_numIfEPKPS1_EviiT2_lllS9_lllT3_lll.has_indirect_call, 0
	.section	.AMDGPU.csdata,"",@progbits
; Kernel info:
; codeLenInByte = 4
; TotalNumSgprs: 4
; NumVgprs: 0
; ScratchSize: 0
; MemoryBound: 0
; FloatMode: 240
; IeeeMode: 1
; LDSByteSize: 0 bytes/workgroup (compile time only)
; SGPRBlocks: 0
; VGPRBlocks: 0
; NumSGPRsForWavesPerEU: 4
; NumVGPRsForWavesPerEU: 1
; Occupancy: 10
; WaveLimiterHint : 0
; COMPUTE_PGM_RSRC2:SCRATCH_EN: 0
; COMPUTE_PGM_RSRC2:USER_SGPR: 6
; COMPUTE_PGM_RSRC2:TRAP_HANDLER: 0
; COMPUTE_PGM_RSRC2:TGID_X_EN: 1
; COMPUTE_PGM_RSRC2:TGID_Y_EN: 0
; COMPUTE_PGM_RSRC2:TGID_Z_EN: 0
; COMPUTE_PGM_RSRC2:TIDIG_COMP_CNT: 0
	.section	.text._ZL19rocblas_dgmm_kernelILi16ELi16ELb0EPKPK19rocblas_complex_numIfEPKPS1_EviiT2_lllS9_lllT3_llli,"axG",@progbits,_ZL19rocblas_dgmm_kernelILi16ELi16ELb0EPKPK19rocblas_complex_numIfEPKPS1_EviiT2_lllS9_lllT3_llli,comdat
	.globl	_ZL19rocblas_dgmm_kernelILi16ELi16ELb0EPKPK19rocblas_complex_numIfEPKPS1_EviiT2_lllS9_lllT3_llli ; -- Begin function _ZL19rocblas_dgmm_kernelILi16ELi16ELb0EPKPK19rocblas_complex_numIfEPKPS1_EviiT2_lllS9_lllT3_llli
	.p2align	8
	.type	_ZL19rocblas_dgmm_kernelILi16ELi16ELb0EPKPK19rocblas_complex_numIfEPKPS1_EviiT2_lllS9_lllT3_llli,@function
_ZL19rocblas_dgmm_kernelILi16ELi16ELb0EPKPK19rocblas_complex_numIfEPKPS1_EviiT2_lllS9_lllT3_llli: ; @_ZL19rocblas_dgmm_kernelILi16ELi16ELb0EPKPK19rocblas_complex_numIfEPKPS1_EviiT2_lllS9_lllT3_llli
; %bb.0:
	s_load_dwordx2 s[2:3], s[4:5], 0x0
	v_lshl_add_u32 v0, s6, 4, v0
	v_lshl_add_u32 v2, s7, 4, v1
	s_waitcnt lgkmcnt(0)
	v_cmp_gt_i32_e32 vcc, s2, v0
	v_cmp_gt_i32_e64 s[0:1], s3, v2
	s_and_b64 s[0:1], vcc, s[0:1]
	s_and_saveexec_b64 s[6:7], s[0:1]
	s_cbranch_execz .LBB25_3
; %bb.1:
	s_load_dwordx4 s[12:15], s[4:5], 0x8
	s_load_dwordx2 s[0:1], s[4:5], 0x18
	s_mov_b32 s9, 0
	s_lshl_b64 s[16:17], s[8:9], 3
	v_ashrrev_i32_e32 v1, 31, v0
	s_waitcnt lgkmcnt(0)
	s_add_u32 s6, s12, s16
	s_addc_u32 s7, s13, s17
	s_load_dwordx2 s[12:13], s[6:7], 0x0
	s_load_dwordx4 s[8:11], s[4:5], 0x28
	s_load_dwordx2 s[18:19], s[4:5], 0x38
	s_lshl_b64 s[6:7], s[14:15], 3
	v_lshlrev_b64 v[5:6], 3, v[0:1]
	s_waitcnt lgkmcnt(0)
	s_add_u32 s2, s12, s6
	s_addc_u32 s22, s13, s7
	s_add_u32 s8, s8, s16
	s_addc_u32 s9, s9, s17
	s_load_dwordx2 s[20:21], s[8:9], 0x0
	s_load_dwordx2 s[6:7], s[4:5], 0x58
	s_load_dwordx4 s[12:15], s[4:5], 0x48
	s_lshl_b64 s[8:9], s[10:11], 3
	v_mul_lo_u32 v7, s19, v0
	s_waitcnt lgkmcnt(0)
	s_add_u32 s20, s20, s8
	s_addc_u32 s21, s21, s9
	s_add_u32 s8, s12, s16
	s_addc_u32 s9, s13, s17
	s_load_dwordx2 s[8:9], s[8:9], 0x0
	s_lshl_b64 s[10:11], s[14:15], 3
	v_mul_lo_u32 v8, s18, v1
	v_mov_b32_e32 v4, s22
	v_add_co_u32_e32 v3, vcc, s2, v5
	s_waitcnt lgkmcnt(0)
	s_add_u32 s10, s8, s10
	s_addc_u32 s11, s9, s11
	v_mad_u64_u32 v[0:1], s[8:9], s18, v0, 0
	s_load_dword s2, s[4:5], 0x74
	v_addc_co_u32_e32 v4, vcc, v4, v6, vcc
	v_add3_u32 v1, v1, v8, v7
	v_lshlrev_b64 v[0:1], 3, v[0:1]
	v_mov_b32_e32 v7, s21
	v_add_co_u32_e32 v0, vcc, s20, v0
	v_addc_co_u32_e32 v1, vcc, v7, v1, vcc
	v_mov_b32_e32 v7, s11
	v_add_co_u32_e32 v5, vcc, s10, v5
	v_addc_co_u32_e32 v6, vcc, v7, v6, vcc
	s_waitcnt lgkmcnt(0)
	s_lshl_b32 s2, s2, 4
	s_mov_b64 s[4:5], 0
.LBB25_2:                               ; =>This Inner Loop Header: Depth=1
	v_ashrrev_i32_e32 v13, 31, v2
	v_mul_lo_u32 v11, s1, v2
	v_mad_u64_u32 v[7:8], s[8:9], s0, v2, 0
	v_mul_lo_u32 v12, s0, v13
	flat_load_dwordx2 v[9:10], v[0:1]
	v_mul_lo_u32 v14, s7, v2
	v_mul_lo_u32 v13, s6, v13
	v_add3_u32 v8, v8, v12, v11
	v_lshlrev_b64 v[7:8], 3, v[7:8]
	v_mad_u64_u32 v[11:12], s[8:9], s6, v2, 0
	v_add_co_u32_e32 v7, vcc, v3, v7
	v_addc_co_u32_e32 v8, vcc, v4, v8, vcc
	flat_load_dwordx2 v[7:8], v[7:8]
	v_add3_u32 v12, v12, v13, v14
	v_add_u32_e32 v2, s2, v2
	v_lshlrev_b64 v[11:12], 3, v[11:12]
	v_cmp_le_i32_e32 vcc, s3, v2
	s_or_b64 s[4:5], vcc, s[4:5]
	v_add_co_u32_e32 v11, vcc, v5, v11
	v_addc_co_u32_e32 v12, vcc, v6, v12, vcc
	s_waitcnt vmcnt(0) lgkmcnt(0)
	v_mul_f32_e32 v13, v10, v8
	v_mul_f32_e32 v14, v9, v8
	v_fma_f32 v13, v9, v7, -v13
	v_fmac_f32_e32 v14, v10, v7
	flat_store_dwordx2 v[11:12], v[13:14]
	s_andn2_b64 exec, exec, s[4:5]
	s_cbranch_execnz .LBB25_2
.LBB25_3:
	s_endpgm
	.section	.rodata,"a",@progbits
	.p2align	6, 0x0
	.amdhsa_kernel _ZL19rocblas_dgmm_kernelILi16ELi16ELb0EPKPK19rocblas_complex_numIfEPKPS1_EviiT2_lllS9_lllT3_llli
		.amdhsa_group_segment_fixed_size 0
		.amdhsa_private_segment_fixed_size 0
		.amdhsa_kernarg_size 368
		.amdhsa_user_sgpr_count 6
		.amdhsa_user_sgpr_private_segment_buffer 1
		.amdhsa_user_sgpr_dispatch_ptr 0
		.amdhsa_user_sgpr_queue_ptr 0
		.amdhsa_user_sgpr_kernarg_segment_ptr 1
		.amdhsa_user_sgpr_dispatch_id 0
		.amdhsa_user_sgpr_flat_scratch_init 0
		.amdhsa_user_sgpr_private_segment_size 0
		.amdhsa_uses_dynamic_stack 0
		.amdhsa_system_sgpr_private_segment_wavefront_offset 0
		.amdhsa_system_sgpr_workgroup_id_x 1
		.amdhsa_system_sgpr_workgroup_id_y 1
		.amdhsa_system_sgpr_workgroup_id_z 1
		.amdhsa_system_sgpr_workgroup_info 0
		.amdhsa_system_vgpr_workitem_id 1
		.amdhsa_next_free_vgpr 15
		.amdhsa_next_free_sgpr 23
		.amdhsa_reserve_vcc 1
		.amdhsa_reserve_flat_scratch 0
		.amdhsa_float_round_mode_32 0
		.amdhsa_float_round_mode_16_64 0
		.amdhsa_float_denorm_mode_32 3
		.amdhsa_float_denorm_mode_16_64 3
		.amdhsa_dx10_clamp 1
		.amdhsa_ieee_mode 1
		.amdhsa_fp16_overflow 0
		.amdhsa_exception_fp_ieee_invalid_op 0
		.amdhsa_exception_fp_denorm_src 0
		.amdhsa_exception_fp_ieee_div_zero 0
		.amdhsa_exception_fp_ieee_overflow 0
		.amdhsa_exception_fp_ieee_underflow 0
		.amdhsa_exception_fp_ieee_inexact 0
		.amdhsa_exception_int_div_zero 0
	.end_amdhsa_kernel
	.section	.text._ZL19rocblas_dgmm_kernelILi16ELi16ELb0EPKPK19rocblas_complex_numIfEPKPS1_EviiT2_lllS9_lllT3_llli,"axG",@progbits,_ZL19rocblas_dgmm_kernelILi16ELi16ELb0EPKPK19rocblas_complex_numIfEPKPS1_EviiT2_lllS9_lllT3_llli,comdat
.Lfunc_end25:
	.size	_ZL19rocblas_dgmm_kernelILi16ELi16ELb0EPKPK19rocblas_complex_numIfEPKPS1_EviiT2_lllS9_lllT3_llli, .Lfunc_end25-_ZL19rocblas_dgmm_kernelILi16ELi16ELb0EPKPK19rocblas_complex_numIfEPKPS1_EviiT2_lllS9_lllT3_llli
                                        ; -- End function
	.set _ZL19rocblas_dgmm_kernelILi16ELi16ELb0EPKPK19rocblas_complex_numIfEPKPS1_EviiT2_lllS9_lllT3_llli.num_vgpr, 15
	.set _ZL19rocblas_dgmm_kernelILi16ELi16ELb0EPKPK19rocblas_complex_numIfEPKPS1_EviiT2_lllS9_lllT3_llli.num_agpr, 0
	.set _ZL19rocblas_dgmm_kernelILi16ELi16ELb0EPKPK19rocblas_complex_numIfEPKPS1_EviiT2_lllS9_lllT3_llli.numbered_sgpr, 23
	.set _ZL19rocblas_dgmm_kernelILi16ELi16ELb0EPKPK19rocblas_complex_numIfEPKPS1_EviiT2_lllS9_lllT3_llli.num_named_barrier, 0
	.set _ZL19rocblas_dgmm_kernelILi16ELi16ELb0EPKPK19rocblas_complex_numIfEPKPS1_EviiT2_lllS9_lllT3_llli.private_seg_size, 0
	.set _ZL19rocblas_dgmm_kernelILi16ELi16ELb0EPKPK19rocblas_complex_numIfEPKPS1_EviiT2_lllS9_lllT3_llli.uses_vcc, 1
	.set _ZL19rocblas_dgmm_kernelILi16ELi16ELb0EPKPK19rocblas_complex_numIfEPKPS1_EviiT2_lllS9_lllT3_llli.uses_flat_scratch, 0
	.set _ZL19rocblas_dgmm_kernelILi16ELi16ELb0EPKPK19rocblas_complex_numIfEPKPS1_EviiT2_lllS9_lllT3_llli.has_dyn_sized_stack, 0
	.set _ZL19rocblas_dgmm_kernelILi16ELi16ELb0EPKPK19rocblas_complex_numIfEPKPS1_EviiT2_lllS9_lllT3_llli.has_recursion, 0
	.set _ZL19rocblas_dgmm_kernelILi16ELi16ELb0EPKPK19rocblas_complex_numIfEPKPS1_EviiT2_lllS9_lllT3_llli.has_indirect_call, 0
	.section	.AMDGPU.csdata,"",@progbits
; Kernel info:
; codeLenInByte = 488
; TotalNumSgprs: 27
; NumVgprs: 15
; ScratchSize: 0
; MemoryBound: 0
; FloatMode: 240
; IeeeMode: 1
; LDSByteSize: 0 bytes/workgroup (compile time only)
; SGPRBlocks: 3
; VGPRBlocks: 3
; NumSGPRsForWavesPerEU: 27
; NumVGPRsForWavesPerEU: 15
; Occupancy: 10
; WaveLimiterHint : 1
; COMPUTE_PGM_RSRC2:SCRATCH_EN: 0
; COMPUTE_PGM_RSRC2:USER_SGPR: 6
; COMPUTE_PGM_RSRC2:TRAP_HANDLER: 0
; COMPUTE_PGM_RSRC2:TGID_X_EN: 1
; COMPUTE_PGM_RSRC2:TGID_Y_EN: 1
; COMPUTE_PGM_RSRC2:TGID_Z_EN: 1
; COMPUTE_PGM_RSRC2:TIDIG_COMP_CNT: 1
	.section	.text._ZL26rocblas_dgmm_gfx942_kernelILi32ELi32ELb1EPKPK19rocblas_complex_numIfEPKPS1_EviiT2_lllS9_lllT3_lll,"axG",@progbits,_ZL26rocblas_dgmm_gfx942_kernelILi32ELi32ELb1EPKPK19rocblas_complex_numIfEPKPS1_EviiT2_lllS9_lllT3_lll,comdat
	.globl	_ZL26rocblas_dgmm_gfx942_kernelILi32ELi32ELb1EPKPK19rocblas_complex_numIfEPKPS1_EviiT2_lllS9_lllT3_lll ; -- Begin function _ZL26rocblas_dgmm_gfx942_kernelILi32ELi32ELb1EPKPK19rocblas_complex_numIfEPKPS1_EviiT2_lllS9_lllT3_lll
	.p2align	8
	.type	_ZL26rocblas_dgmm_gfx942_kernelILi32ELi32ELb1EPKPK19rocblas_complex_numIfEPKPS1_EviiT2_lllS9_lllT3_lll,@function
_ZL26rocblas_dgmm_gfx942_kernelILi32ELi32ELb1EPKPK19rocblas_complex_numIfEPKPS1_EviiT2_lllS9_lllT3_lll: ; @_ZL26rocblas_dgmm_gfx942_kernelILi32ELi32ELb1EPKPK19rocblas_complex_numIfEPKPS1_EviiT2_lllS9_lllT3_lll
; %bb.0:
	s_endpgm
	.section	.rodata,"a",@progbits
	.p2align	6, 0x0
	.amdhsa_kernel _ZL26rocblas_dgmm_gfx942_kernelILi32ELi32ELb1EPKPK19rocblas_complex_numIfEPKPS1_EviiT2_lllS9_lllT3_lll
		.amdhsa_group_segment_fixed_size 0
		.amdhsa_private_segment_fixed_size 0
		.amdhsa_kernarg_size 104
		.amdhsa_user_sgpr_count 6
		.amdhsa_user_sgpr_private_segment_buffer 1
		.amdhsa_user_sgpr_dispatch_ptr 0
		.amdhsa_user_sgpr_queue_ptr 0
		.amdhsa_user_sgpr_kernarg_segment_ptr 1
		.amdhsa_user_sgpr_dispatch_id 0
		.amdhsa_user_sgpr_flat_scratch_init 0
		.amdhsa_user_sgpr_private_segment_size 0
		.amdhsa_uses_dynamic_stack 0
		.amdhsa_system_sgpr_private_segment_wavefront_offset 0
		.amdhsa_system_sgpr_workgroup_id_x 1
		.amdhsa_system_sgpr_workgroup_id_y 0
		.amdhsa_system_sgpr_workgroup_id_z 0
		.amdhsa_system_sgpr_workgroup_info 0
		.amdhsa_system_vgpr_workitem_id 0
		.amdhsa_next_free_vgpr 1
		.amdhsa_next_free_sgpr 0
		.amdhsa_reserve_vcc 0
		.amdhsa_reserve_flat_scratch 0
		.amdhsa_float_round_mode_32 0
		.amdhsa_float_round_mode_16_64 0
		.amdhsa_float_denorm_mode_32 3
		.amdhsa_float_denorm_mode_16_64 3
		.amdhsa_dx10_clamp 1
		.amdhsa_ieee_mode 1
		.amdhsa_fp16_overflow 0
		.amdhsa_exception_fp_ieee_invalid_op 0
		.amdhsa_exception_fp_denorm_src 0
		.amdhsa_exception_fp_ieee_div_zero 0
		.amdhsa_exception_fp_ieee_overflow 0
		.amdhsa_exception_fp_ieee_underflow 0
		.amdhsa_exception_fp_ieee_inexact 0
		.amdhsa_exception_int_div_zero 0
	.end_amdhsa_kernel
	.section	.text._ZL26rocblas_dgmm_gfx942_kernelILi32ELi32ELb1EPKPK19rocblas_complex_numIfEPKPS1_EviiT2_lllS9_lllT3_lll,"axG",@progbits,_ZL26rocblas_dgmm_gfx942_kernelILi32ELi32ELb1EPKPK19rocblas_complex_numIfEPKPS1_EviiT2_lllS9_lllT3_lll,comdat
.Lfunc_end26:
	.size	_ZL26rocblas_dgmm_gfx942_kernelILi32ELi32ELb1EPKPK19rocblas_complex_numIfEPKPS1_EviiT2_lllS9_lllT3_lll, .Lfunc_end26-_ZL26rocblas_dgmm_gfx942_kernelILi32ELi32ELb1EPKPK19rocblas_complex_numIfEPKPS1_EviiT2_lllS9_lllT3_lll
                                        ; -- End function
	.set _ZL26rocblas_dgmm_gfx942_kernelILi32ELi32ELb1EPKPK19rocblas_complex_numIfEPKPS1_EviiT2_lllS9_lllT3_lll.num_vgpr, 0
	.set _ZL26rocblas_dgmm_gfx942_kernelILi32ELi32ELb1EPKPK19rocblas_complex_numIfEPKPS1_EviiT2_lllS9_lllT3_lll.num_agpr, 0
	.set _ZL26rocblas_dgmm_gfx942_kernelILi32ELi32ELb1EPKPK19rocblas_complex_numIfEPKPS1_EviiT2_lllS9_lllT3_lll.numbered_sgpr, 0
	.set _ZL26rocblas_dgmm_gfx942_kernelILi32ELi32ELb1EPKPK19rocblas_complex_numIfEPKPS1_EviiT2_lllS9_lllT3_lll.num_named_barrier, 0
	.set _ZL26rocblas_dgmm_gfx942_kernelILi32ELi32ELb1EPKPK19rocblas_complex_numIfEPKPS1_EviiT2_lllS9_lllT3_lll.private_seg_size, 0
	.set _ZL26rocblas_dgmm_gfx942_kernelILi32ELi32ELb1EPKPK19rocblas_complex_numIfEPKPS1_EviiT2_lllS9_lllT3_lll.uses_vcc, 0
	.set _ZL26rocblas_dgmm_gfx942_kernelILi32ELi32ELb1EPKPK19rocblas_complex_numIfEPKPS1_EviiT2_lllS9_lllT3_lll.uses_flat_scratch, 0
	.set _ZL26rocblas_dgmm_gfx942_kernelILi32ELi32ELb1EPKPK19rocblas_complex_numIfEPKPS1_EviiT2_lllS9_lllT3_lll.has_dyn_sized_stack, 0
	.set _ZL26rocblas_dgmm_gfx942_kernelILi32ELi32ELb1EPKPK19rocblas_complex_numIfEPKPS1_EviiT2_lllS9_lllT3_lll.has_recursion, 0
	.set _ZL26rocblas_dgmm_gfx942_kernelILi32ELi32ELb1EPKPK19rocblas_complex_numIfEPKPS1_EviiT2_lllS9_lllT3_lll.has_indirect_call, 0
	.section	.AMDGPU.csdata,"",@progbits
; Kernel info:
; codeLenInByte = 4
; TotalNumSgprs: 4
; NumVgprs: 0
; ScratchSize: 0
; MemoryBound: 0
; FloatMode: 240
; IeeeMode: 1
; LDSByteSize: 0 bytes/workgroup (compile time only)
; SGPRBlocks: 0
; VGPRBlocks: 0
; NumSGPRsForWavesPerEU: 4
; NumVGPRsForWavesPerEU: 1
; Occupancy: 10
; WaveLimiterHint : 0
; COMPUTE_PGM_RSRC2:SCRATCH_EN: 0
; COMPUTE_PGM_RSRC2:USER_SGPR: 6
; COMPUTE_PGM_RSRC2:TRAP_HANDLER: 0
; COMPUTE_PGM_RSRC2:TGID_X_EN: 1
; COMPUTE_PGM_RSRC2:TGID_Y_EN: 0
; COMPUTE_PGM_RSRC2:TGID_Z_EN: 0
; COMPUTE_PGM_RSRC2:TIDIG_COMP_CNT: 0
	.section	.text._ZL19rocblas_dgmm_kernelILi16ELi16ELb1EPKPK19rocblas_complex_numIfEPKPS1_EviiT2_lllS9_lllT3_llli,"axG",@progbits,_ZL19rocblas_dgmm_kernelILi16ELi16ELb1EPKPK19rocblas_complex_numIfEPKPS1_EviiT2_lllS9_lllT3_llli,comdat
	.globl	_ZL19rocblas_dgmm_kernelILi16ELi16ELb1EPKPK19rocblas_complex_numIfEPKPS1_EviiT2_lllS9_lllT3_llli ; -- Begin function _ZL19rocblas_dgmm_kernelILi16ELi16ELb1EPKPK19rocblas_complex_numIfEPKPS1_EviiT2_lllS9_lllT3_llli
	.p2align	8
	.type	_ZL19rocblas_dgmm_kernelILi16ELi16ELb1EPKPK19rocblas_complex_numIfEPKPS1_EviiT2_lllS9_lllT3_llli,@function
_ZL19rocblas_dgmm_kernelILi16ELi16ELb1EPKPK19rocblas_complex_numIfEPKPS1_EviiT2_lllS9_lllT3_llli: ; @_ZL19rocblas_dgmm_kernelILi16ELi16ELb1EPKPK19rocblas_complex_numIfEPKPS1_EviiT2_lllS9_lllT3_llli
; %bb.0:
	s_load_dwordx2 s[2:3], s[4:5], 0x0
	v_lshl_add_u32 v0, s6, 4, v0
	v_lshl_add_u32 v2, s7, 4, v1
	s_waitcnt lgkmcnt(0)
	v_cmp_gt_i32_e32 vcc, s2, v0
	v_cmp_gt_i32_e64 s[0:1], s3, v2
	s_and_b64 s[0:1], vcc, s[0:1]
	s_and_saveexec_b64 s[6:7], s[0:1]
	s_cbranch_execz .LBB27_3
; %bb.1:
	s_load_dwordx4 s[12:15], s[4:5], 0x8
	s_load_dwordx2 s[0:1], s[4:5], 0x18
	s_mov_b32 s9, 0
	s_lshl_b64 s[16:17], s[8:9], 3
	v_ashrrev_i32_e32 v1, 31, v0
	s_waitcnt lgkmcnt(0)
	s_add_u32 s12, s12, s16
	s_addc_u32 s13, s13, s17
	s_load_dwordx2 s[18:19], s[12:13], 0x0
	s_load_dwordx4 s[8:11], s[4:5], 0x28
	s_load_dwordx2 s[6:7], s[4:5], 0x38
	s_lshl_b64 s[12:13], s[14:15], 3
	v_lshlrev_b64 v[3:4], 3, v[0:1]
	s_waitcnt lgkmcnt(0)
	s_add_u32 s22, s18, s12
	s_addc_u32 s23, s19, s13
	s_add_u32 s18, s8, s16
	s_addc_u32 s19, s9, s17
	s_load_dwordx2 s[20:21], s[18:19], 0x0
	s_load_dwordx4 s[12:15], s[4:5], 0x48
	s_load_dwordx2 s[8:9], s[4:5], 0x58
	s_lshl_b64 s[10:11], s[10:11], 3
	s_load_dword s4, s[4:5], 0x74
	s_waitcnt lgkmcnt(0)
	s_add_u32 s2, s20, s10
	s_addc_u32 s18, s21, s11
	s_add_u32 s10, s12, s16
	s_addc_u32 s11, s13, s17
	s_load_dwordx2 s[10:11], s[10:11], 0x0
	s_lshl_b64 s[12:13], s[14:15], 3
	v_mov_b32_e32 v1, s23
	v_add_co_u32_e32 v0, vcc, s22, v3
	s_waitcnt lgkmcnt(0)
	s_add_u32 s10, s10, s12
	s_addc_u32 s11, s11, s13
	v_addc_co_u32_e32 v1, vcc, v1, v4, vcc
	v_mov_b32_e32 v5, s11
	v_add_co_u32_e32 v3, vcc, s10, v3
	v_addc_co_u32_e32 v4, vcc, v5, v4, vcc
	s_lshl_b32 s10, s4, 4
	s_mov_b64 s[4:5], 0
	v_mov_b32_e32 v5, s18
.LBB27_2:                               ; =>This Inner Loop Header: Depth=1
	v_ashrrev_i32_e32 v14, 31, v2
	v_mul_lo_u32 v10, s1, v2
	v_mad_u64_u32 v[6:7], s[12:13], s0, v2, 0
	v_mul_lo_u32 v12, s0, v14
	v_mul_lo_u32 v11, s7, v2
	v_mad_u64_u32 v[8:9], s[12:13], s6, v2, 0
	v_mul_lo_u32 v13, s6, v14
	v_add3_u32 v7, v7, v12, v10
	v_lshlrev_b64 v[6:7], 3, v[6:7]
	v_add3_u32 v9, v9, v13, v11
	v_lshlrev_b64 v[8:9], 3, v[8:9]
	v_add_co_u32_e32 v6, vcc, v0, v6
	v_addc_co_u32_e32 v7, vcc, v1, v7, vcc
	v_add_co_u32_e32 v8, vcc, s2, v8
	v_addc_co_u32_e32 v9, vcc, v5, v9, vcc
	flat_load_dwordx2 v[10:11], v[6:7]
	flat_load_dwordx2 v[12:13], v[8:9]
	v_mul_lo_u32 v8, s9, v2
	v_mad_u64_u32 v[6:7], s[12:13], s8, v2, 0
	v_mul_lo_u32 v9, s8, v14
	v_add_u32_e32 v2, s10, v2
	v_cmp_le_i32_e32 vcc, s3, v2
	s_or_b64 s[4:5], vcc, s[4:5]
	v_add3_u32 v7, v7, v9, v8
	v_lshlrev_b64 v[6:7], 3, v[6:7]
	v_add_co_u32_e32 v6, vcc, v3, v6
	v_addc_co_u32_e32 v7, vcc, v4, v7, vcc
	s_waitcnt vmcnt(0) lgkmcnt(0)
	v_mul_f32_e32 v8, v13, v11
	v_mul_f32_e32 v9, v12, v11
	v_fma_f32 v8, v12, v10, -v8
	v_fmac_f32_e32 v9, v13, v10
	flat_store_dwordx2 v[6:7], v[8:9]
	s_andn2_b64 exec, exec, s[4:5]
	s_cbranch_execnz .LBB27_2
.LBB27_3:
	s_endpgm
	.section	.rodata,"a",@progbits
	.p2align	6, 0x0
	.amdhsa_kernel _ZL19rocblas_dgmm_kernelILi16ELi16ELb1EPKPK19rocblas_complex_numIfEPKPS1_EviiT2_lllS9_lllT3_llli
		.amdhsa_group_segment_fixed_size 0
		.amdhsa_private_segment_fixed_size 0
		.amdhsa_kernarg_size 368
		.amdhsa_user_sgpr_count 6
		.amdhsa_user_sgpr_private_segment_buffer 1
		.amdhsa_user_sgpr_dispatch_ptr 0
		.amdhsa_user_sgpr_queue_ptr 0
		.amdhsa_user_sgpr_kernarg_segment_ptr 1
		.amdhsa_user_sgpr_dispatch_id 0
		.amdhsa_user_sgpr_flat_scratch_init 0
		.amdhsa_user_sgpr_private_segment_size 0
		.amdhsa_uses_dynamic_stack 0
		.amdhsa_system_sgpr_private_segment_wavefront_offset 0
		.amdhsa_system_sgpr_workgroup_id_x 1
		.amdhsa_system_sgpr_workgroup_id_y 1
		.amdhsa_system_sgpr_workgroup_id_z 1
		.amdhsa_system_sgpr_workgroup_info 0
		.amdhsa_system_vgpr_workitem_id 1
		.amdhsa_next_free_vgpr 15
		.amdhsa_next_free_sgpr 24
		.amdhsa_reserve_vcc 1
		.amdhsa_reserve_flat_scratch 0
		.amdhsa_float_round_mode_32 0
		.amdhsa_float_round_mode_16_64 0
		.amdhsa_float_denorm_mode_32 3
		.amdhsa_float_denorm_mode_16_64 3
		.amdhsa_dx10_clamp 1
		.amdhsa_ieee_mode 1
		.amdhsa_fp16_overflow 0
		.amdhsa_exception_fp_ieee_invalid_op 0
		.amdhsa_exception_fp_denorm_src 0
		.amdhsa_exception_fp_ieee_div_zero 0
		.amdhsa_exception_fp_ieee_overflow 0
		.amdhsa_exception_fp_ieee_underflow 0
		.amdhsa_exception_fp_ieee_inexact 0
		.amdhsa_exception_int_div_zero 0
	.end_amdhsa_kernel
	.section	.text._ZL19rocblas_dgmm_kernelILi16ELi16ELb1EPKPK19rocblas_complex_numIfEPKPS1_EviiT2_lllS9_lllT3_llli,"axG",@progbits,_ZL19rocblas_dgmm_kernelILi16ELi16ELb1EPKPK19rocblas_complex_numIfEPKPS1_EviiT2_lllS9_lllT3_llli,comdat
.Lfunc_end27:
	.size	_ZL19rocblas_dgmm_kernelILi16ELi16ELb1EPKPK19rocblas_complex_numIfEPKPS1_EviiT2_lllS9_lllT3_llli, .Lfunc_end27-_ZL19rocblas_dgmm_kernelILi16ELi16ELb1EPKPK19rocblas_complex_numIfEPKPS1_EviiT2_lllS9_lllT3_llli
                                        ; -- End function
	.set _ZL19rocblas_dgmm_kernelILi16ELi16ELb1EPKPK19rocblas_complex_numIfEPKPS1_EviiT2_lllS9_lllT3_llli.num_vgpr, 15
	.set _ZL19rocblas_dgmm_kernelILi16ELi16ELb1EPKPK19rocblas_complex_numIfEPKPS1_EviiT2_lllS9_lllT3_llli.num_agpr, 0
	.set _ZL19rocblas_dgmm_kernelILi16ELi16ELb1EPKPK19rocblas_complex_numIfEPKPS1_EviiT2_lllS9_lllT3_llli.numbered_sgpr, 24
	.set _ZL19rocblas_dgmm_kernelILi16ELi16ELb1EPKPK19rocblas_complex_numIfEPKPS1_EviiT2_lllS9_lllT3_llli.num_named_barrier, 0
	.set _ZL19rocblas_dgmm_kernelILi16ELi16ELb1EPKPK19rocblas_complex_numIfEPKPS1_EviiT2_lllS9_lllT3_llli.private_seg_size, 0
	.set _ZL19rocblas_dgmm_kernelILi16ELi16ELb1EPKPK19rocblas_complex_numIfEPKPS1_EviiT2_lllS9_lllT3_llli.uses_vcc, 1
	.set _ZL19rocblas_dgmm_kernelILi16ELi16ELb1EPKPK19rocblas_complex_numIfEPKPS1_EviiT2_lllS9_lllT3_llli.uses_flat_scratch, 0
	.set _ZL19rocblas_dgmm_kernelILi16ELi16ELb1EPKPK19rocblas_complex_numIfEPKPS1_EviiT2_lllS9_lllT3_llli.has_dyn_sized_stack, 0
	.set _ZL19rocblas_dgmm_kernelILi16ELi16ELb1EPKPK19rocblas_complex_numIfEPKPS1_EviiT2_lllS9_lllT3_llli.has_recursion, 0
	.set _ZL19rocblas_dgmm_kernelILi16ELi16ELb1EPKPK19rocblas_complex_numIfEPKPS1_EviiT2_lllS9_lllT3_llli.has_indirect_call, 0
	.section	.AMDGPU.csdata,"",@progbits
; Kernel info:
; codeLenInByte = 484
; TotalNumSgprs: 28
; NumVgprs: 15
; ScratchSize: 0
; MemoryBound: 0
; FloatMode: 240
; IeeeMode: 1
; LDSByteSize: 0 bytes/workgroup (compile time only)
; SGPRBlocks: 3
; VGPRBlocks: 3
; NumSGPRsForWavesPerEU: 28
; NumVGPRsForWavesPerEU: 15
; Occupancy: 10
; WaveLimiterHint : 1
; COMPUTE_PGM_RSRC2:SCRATCH_EN: 0
; COMPUTE_PGM_RSRC2:USER_SGPR: 6
; COMPUTE_PGM_RSRC2:TRAP_HANDLER: 0
; COMPUTE_PGM_RSRC2:TGID_X_EN: 1
; COMPUTE_PGM_RSRC2:TGID_Y_EN: 1
; COMPUTE_PGM_RSRC2:TGID_Z_EN: 1
; COMPUTE_PGM_RSRC2:TIDIG_COMP_CNT: 1
	.section	.text._ZL26rocblas_dgmm_gfx942_kernelILi32ELi32ELb0EPKPK19rocblas_complex_numIdEPKPS1_EviiT2_lllS9_lllT3_lll,"axG",@progbits,_ZL26rocblas_dgmm_gfx942_kernelILi32ELi32ELb0EPKPK19rocblas_complex_numIdEPKPS1_EviiT2_lllS9_lllT3_lll,comdat
	.globl	_ZL26rocblas_dgmm_gfx942_kernelILi32ELi32ELb0EPKPK19rocblas_complex_numIdEPKPS1_EviiT2_lllS9_lllT3_lll ; -- Begin function _ZL26rocblas_dgmm_gfx942_kernelILi32ELi32ELb0EPKPK19rocblas_complex_numIdEPKPS1_EviiT2_lllS9_lllT3_lll
	.p2align	8
	.type	_ZL26rocblas_dgmm_gfx942_kernelILi32ELi32ELb0EPKPK19rocblas_complex_numIdEPKPS1_EviiT2_lllS9_lllT3_lll,@function
_ZL26rocblas_dgmm_gfx942_kernelILi32ELi32ELb0EPKPK19rocblas_complex_numIdEPKPS1_EviiT2_lllS9_lllT3_lll: ; @_ZL26rocblas_dgmm_gfx942_kernelILi32ELi32ELb0EPKPK19rocblas_complex_numIdEPKPS1_EviiT2_lllS9_lllT3_lll
; %bb.0:
	s_endpgm
	.section	.rodata,"a",@progbits
	.p2align	6, 0x0
	.amdhsa_kernel _ZL26rocblas_dgmm_gfx942_kernelILi32ELi32ELb0EPKPK19rocblas_complex_numIdEPKPS1_EviiT2_lllS9_lllT3_lll
		.amdhsa_group_segment_fixed_size 0
		.amdhsa_private_segment_fixed_size 0
		.amdhsa_kernarg_size 104
		.amdhsa_user_sgpr_count 6
		.amdhsa_user_sgpr_private_segment_buffer 1
		.amdhsa_user_sgpr_dispatch_ptr 0
		.amdhsa_user_sgpr_queue_ptr 0
		.amdhsa_user_sgpr_kernarg_segment_ptr 1
		.amdhsa_user_sgpr_dispatch_id 0
		.amdhsa_user_sgpr_flat_scratch_init 0
		.amdhsa_user_sgpr_private_segment_size 0
		.amdhsa_uses_dynamic_stack 0
		.amdhsa_system_sgpr_private_segment_wavefront_offset 0
		.amdhsa_system_sgpr_workgroup_id_x 1
		.amdhsa_system_sgpr_workgroup_id_y 0
		.amdhsa_system_sgpr_workgroup_id_z 0
		.amdhsa_system_sgpr_workgroup_info 0
		.amdhsa_system_vgpr_workitem_id 0
		.amdhsa_next_free_vgpr 1
		.amdhsa_next_free_sgpr 0
		.amdhsa_reserve_vcc 0
		.amdhsa_reserve_flat_scratch 0
		.amdhsa_float_round_mode_32 0
		.amdhsa_float_round_mode_16_64 0
		.amdhsa_float_denorm_mode_32 3
		.amdhsa_float_denorm_mode_16_64 3
		.amdhsa_dx10_clamp 1
		.amdhsa_ieee_mode 1
		.amdhsa_fp16_overflow 0
		.amdhsa_exception_fp_ieee_invalid_op 0
		.amdhsa_exception_fp_denorm_src 0
		.amdhsa_exception_fp_ieee_div_zero 0
		.amdhsa_exception_fp_ieee_overflow 0
		.amdhsa_exception_fp_ieee_underflow 0
		.amdhsa_exception_fp_ieee_inexact 0
		.amdhsa_exception_int_div_zero 0
	.end_amdhsa_kernel
	.section	.text._ZL26rocblas_dgmm_gfx942_kernelILi32ELi32ELb0EPKPK19rocblas_complex_numIdEPKPS1_EviiT2_lllS9_lllT3_lll,"axG",@progbits,_ZL26rocblas_dgmm_gfx942_kernelILi32ELi32ELb0EPKPK19rocblas_complex_numIdEPKPS1_EviiT2_lllS9_lllT3_lll,comdat
.Lfunc_end28:
	.size	_ZL26rocblas_dgmm_gfx942_kernelILi32ELi32ELb0EPKPK19rocblas_complex_numIdEPKPS1_EviiT2_lllS9_lllT3_lll, .Lfunc_end28-_ZL26rocblas_dgmm_gfx942_kernelILi32ELi32ELb0EPKPK19rocblas_complex_numIdEPKPS1_EviiT2_lllS9_lllT3_lll
                                        ; -- End function
	.set _ZL26rocblas_dgmm_gfx942_kernelILi32ELi32ELb0EPKPK19rocblas_complex_numIdEPKPS1_EviiT2_lllS9_lllT3_lll.num_vgpr, 0
	.set _ZL26rocblas_dgmm_gfx942_kernelILi32ELi32ELb0EPKPK19rocblas_complex_numIdEPKPS1_EviiT2_lllS9_lllT3_lll.num_agpr, 0
	.set _ZL26rocblas_dgmm_gfx942_kernelILi32ELi32ELb0EPKPK19rocblas_complex_numIdEPKPS1_EviiT2_lllS9_lllT3_lll.numbered_sgpr, 0
	.set _ZL26rocblas_dgmm_gfx942_kernelILi32ELi32ELb0EPKPK19rocblas_complex_numIdEPKPS1_EviiT2_lllS9_lllT3_lll.num_named_barrier, 0
	.set _ZL26rocblas_dgmm_gfx942_kernelILi32ELi32ELb0EPKPK19rocblas_complex_numIdEPKPS1_EviiT2_lllS9_lllT3_lll.private_seg_size, 0
	.set _ZL26rocblas_dgmm_gfx942_kernelILi32ELi32ELb0EPKPK19rocblas_complex_numIdEPKPS1_EviiT2_lllS9_lllT3_lll.uses_vcc, 0
	.set _ZL26rocblas_dgmm_gfx942_kernelILi32ELi32ELb0EPKPK19rocblas_complex_numIdEPKPS1_EviiT2_lllS9_lllT3_lll.uses_flat_scratch, 0
	.set _ZL26rocblas_dgmm_gfx942_kernelILi32ELi32ELb0EPKPK19rocblas_complex_numIdEPKPS1_EviiT2_lllS9_lllT3_lll.has_dyn_sized_stack, 0
	.set _ZL26rocblas_dgmm_gfx942_kernelILi32ELi32ELb0EPKPK19rocblas_complex_numIdEPKPS1_EviiT2_lllS9_lllT3_lll.has_recursion, 0
	.set _ZL26rocblas_dgmm_gfx942_kernelILi32ELi32ELb0EPKPK19rocblas_complex_numIdEPKPS1_EviiT2_lllS9_lllT3_lll.has_indirect_call, 0
	.section	.AMDGPU.csdata,"",@progbits
; Kernel info:
; codeLenInByte = 4
; TotalNumSgprs: 4
; NumVgprs: 0
; ScratchSize: 0
; MemoryBound: 0
; FloatMode: 240
; IeeeMode: 1
; LDSByteSize: 0 bytes/workgroup (compile time only)
; SGPRBlocks: 0
; VGPRBlocks: 0
; NumSGPRsForWavesPerEU: 4
; NumVGPRsForWavesPerEU: 1
; Occupancy: 10
; WaveLimiterHint : 0
; COMPUTE_PGM_RSRC2:SCRATCH_EN: 0
; COMPUTE_PGM_RSRC2:USER_SGPR: 6
; COMPUTE_PGM_RSRC2:TRAP_HANDLER: 0
; COMPUTE_PGM_RSRC2:TGID_X_EN: 1
; COMPUTE_PGM_RSRC2:TGID_Y_EN: 0
; COMPUTE_PGM_RSRC2:TGID_Z_EN: 0
; COMPUTE_PGM_RSRC2:TIDIG_COMP_CNT: 0
	.section	.text._ZL19rocblas_dgmm_kernelILi16ELi16ELb0EPKPK19rocblas_complex_numIdEPKPS1_EviiT2_lllS9_lllT3_llli,"axG",@progbits,_ZL19rocblas_dgmm_kernelILi16ELi16ELb0EPKPK19rocblas_complex_numIdEPKPS1_EviiT2_lllS9_lllT3_llli,comdat
	.globl	_ZL19rocblas_dgmm_kernelILi16ELi16ELb0EPKPK19rocblas_complex_numIdEPKPS1_EviiT2_lllS9_lllT3_llli ; -- Begin function _ZL19rocblas_dgmm_kernelILi16ELi16ELb0EPKPK19rocblas_complex_numIdEPKPS1_EviiT2_lllS9_lllT3_llli
	.p2align	8
	.type	_ZL19rocblas_dgmm_kernelILi16ELi16ELb0EPKPK19rocblas_complex_numIdEPKPS1_EviiT2_lllS9_lllT3_llli,@function
_ZL19rocblas_dgmm_kernelILi16ELi16ELb0EPKPK19rocblas_complex_numIdEPKPS1_EviiT2_lllS9_lllT3_llli: ; @_ZL19rocblas_dgmm_kernelILi16ELi16ELb0EPKPK19rocblas_complex_numIdEPKPS1_EviiT2_lllS9_lllT3_llli
; %bb.0:
	s_load_dwordx2 s[2:3], s[4:5], 0x0
	v_lshl_add_u32 v0, s6, 4, v0
	v_lshl_add_u32 v2, s7, 4, v1
	s_waitcnt lgkmcnt(0)
	v_cmp_gt_i32_e32 vcc, s2, v0
	v_cmp_gt_i32_e64 s[0:1], s3, v2
	s_and_b64 s[0:1], vcc, s[0:1]
	s_and_saveexec_b64 s[6:7], s[0:1]
	s_cbranch_execz .LBB29_3
; %bb.1:
	s_load_dwordx4 s[12:15], s[4:5], 0x8
	s_load_dwordx2 s[0:1], s[4:5], 0x18
	s_mov_b32 s9, 0
	s_lshl_b64 s[16:17], s[8:9], 3
	v_ashrrev_i32_e32 v1, 31, v0
	s_waitcnt lgkmcnt(0)
	s_add_u32 s6, s12, s16
	s_addc_u32 s7, s13, s17
	s_load_dwordx2 s[12:13], s[6:7], 0x0
	s_load_dwordx4 s[8:11], s[4:5], 0x28
	s_load_dwordx2 s[18:19], s[4:5], 0x38
	s_lshl_b64 s[6:7], s[14:15], 4
	v_lshlrev_b64 v[5:6], 4, v[0:1]
	s_waitcnt lgkmcnt(0)
	s_add_u32 s2, s12, s6
	s_addc_u32 s22, s13, s7
	s_add_u32 s8, s8, s16
	s_addc_u32 s9, s9, s17
	s_load_dwordx2 s[20:21], s[8:9], 0x0
	s_load_dwordx2 s[6:7], s[4:5], 0x58
	s_load_dwordx4 s[12:15], s[4:5], 0x48
	s_lshl_b64 s[8:9], s[10:11], 4
	v_mul_lo_u32 v7, s19, v0
	s_waitcnt lgkmcnt(0)
	s_add_u32 s20, s20, s8
	s_addc_u32 s21, s21, s9
	s_add_u32 s8, s12, s16
	s_addc_u32 s9, s13, s17
	s_load_dwordx2 s[8:9], s[8:9], 0x0
	s_lshl_b64 s[10:11], s[14:15], 4
	v_mul_lo_u32 v8, s18, v1
	v_mov_b32_e32 v4, s22
	v_add_co_u32_e32 v3, vcc, s2, v5
	s_waitcnt lgkmcnt(0)
	s_add_u32 s10, s8, s10
	s_addc_u32 s11, s9, s11
	v_mad_u64_u32 v[0:1], s[8:9], s18, v0, 0
	s_load_dword s2, s[4:5], 0x74
	v_addc_co_u32_e32 v4, vcc, v4, v6, vcc
	v_add3_u32 v1, v1, v8, v7
	v_lshlrev_b64 v[0:1], 4, v[0:1]
	v_mov_b32_e32 v7, s21
	v_add_co_u32_e32 v0, vcc, s20, v0
	v_addc_co_u32_e32 v1, vcc, v7, v1, vcc
	v_mov_b32_e32 v7, s11
	v_add_co_u32_e32 v5, vcc, s10, v5
	v_addc_co_u32_e32 v6, vcc, v7, v6, vcc
	s_waitcnt lgkmcnt(0)
	s_lshl_b32 s2, s2, 4
	s_mov_b64 s[4:5], 0
.LBB29_2:                               ; =>This Inner Loop Header: Depth=1
	v_ashrrev_i32_e32 v17, 31, v2
	v_mul_lo_u32 v13, s1, v2
	v_mad_u64_u32 v[11:12], s[8:9], s0, v2, 0
	v_mul_lo_u32 v14, s0, v17
	flat_load_dwordx4 v[7:10], v[0:1]
	v_add3_u32 v12, v12, v14, v13
	v_lshlrev_b64 v[11:12], 4, v[11:12]
	v_add_co_u32_e32 v11, vcc, v3, v11
	v_addc_co_u32_e32 v12, vcc, v4, v12, vcc
	flat_load_dwordx4 v[11:14], v[11:12]
	s_waitcnt vmcnt(0) lgkmcnt(0)
	v_mul_f64 v[15:16], v[9:10], v[13:14]
	v_mul_f64 v[13:14], v[7:8], v[13:14]
	v_fma_f64 v[7:8], v[7:8], v[11:12], -v[15:16]
	v_fma_f64 v[9:10], v[9:10], v[11:12], v[13:14]
	v_mul_lo_u32 v13, s7, v2
	v_mad_u64_u32 v[11:12], s[8:9], s6, v2, 0
	v_mul_lo_u32 v14, s6, v17
	v_add_u32_e32 v2, s2, v2
	v_cmp_le_i32_e32 vcc, s3, v2
	s_or_b64 s[4:5], vcc, s[4:5]
	v_add3_u32 v12, v12, v14, v13
	v_lshlrev_b64 v[11:12], 4, v[11:12]
	v_add_co_u32_e32 v11, vcc, v5, v11
	v_addc_co_u32_e32 v12, vcc, v6, v12, vcc
	flat_store_dwordx4 v[11:12], v[7:10]
	s_andn2_b64 exec, exec, s[4:5]
	s_cbranch_execnz .LBB29_2
.LBB29_3:
	s_endpgm
	.section	.rodata,"a",@progbits
	.p2align	6, 0x0
	.amdhsa_kernel _ZL19rocblas_dgmm_kernelILi16ELi16ELb0EPKPK19rocblas_complex_numIdEPKPS1_EviiT2_lllS9_lllT3_llli
		.amdhsa_group_segment_fixed_size 0
		.amdhsa_private_segment_fixed_size 0
		.amdhsa_kernarg_size 368
		.amdhsa_user_sgpr_count 6
		.amdhsa_user_sgpr_private_segment_buffer 1
		.amdhsa_user_sgpr_dispatch_ptr 0
		.amdhsa_user_sgpr_queue_ptr 0
		.amdhsa_user_sgpr_kernarg_segment_ptr 1
		.amdhsa_user_sgpr_dispatch_id 0
		.amdhsa_user_sgpr_flat_scratch_init 0
		.amdhsa_user_sgpr_private_segment_size 0
		.amdhsa_uses_dynamic_stack 0
		.amdhsa_system_sgpr_private_segment_wavefront_offset 0
		.amdhsa_system_sgpr_workgroup_id_x 1
		.amdhsa_system_sgpr_workgroup_id_y 1
		.amdhsa_system_sgpr_workgroup_id_z 1
		.amdhsa_system_sgpr_workgroup_info 0
		.amdhsa_system_vgpr_workitem_id 1
		.amdhsa_next_free_vgpr 18
		.amdhsa_next_free_sgpr 23
		.amdhsa_reserve_vcc 1
		.amdhsa_reserve_flat_scratch 0
		.amdhsa_float_round_mode_32 0
		.amdhsa_float_round_mode_16_64 0
		.amdhsa_float_denorm_mode_32 3
		.amdhsa_float_denorm_mode_16_64 3
		.amdhsa_dx10_clamp 1
		.amdhsa_ieee_mode 1
		.amdhsa_fp16_overflow 0
		.amdhsa_exception_fp_ieee_invalid_op 0
		.amdhsa_exception_fp_denorm_src 0
		.amdhsa_exception_fp_ieee_div_zero 0
		.amdhsa_exception_fp_ieee_overflow 0
		.amdhsa_exception_fp_ieee_underflow 0
		.amdhsa_exception_fp_ieee_inexact 0
		.amdhsa_exception_int_div_zero 0
	.end_amdhsa_kernel
	.section	.text._ZL19rocblas_dgmm_kernelILi16ELi16ELb0EPKPK19rocblas_complex_numIdEPKPS1_EviiT2_lllS9_lllT3_llli,"axG",@progbits,_ZL19rocblas_dgmm_kernelILi16ELi16ELb0EPKPK19rocblas_complex_numIdEPKPS1_EviiT2_lllS9_lllT3_llli,comdat
.Lfunc_end29:
	.size	_ZL19rocblas_dgmm_kernelILi16ELi16ELb0EPKPK19rocblas_complex_numIdEPKPS1_EviiT2_lllS9_lllT3_llli, .Lfunc_end29-_ZL19rocblas_dgmm_kernelILi16ELi16ELb0EPKPK19rocblas_complex_numIdEPKPS1_EviiT2_lllS9_lllT3_llli
                                        ; -- End function
	.set _ZL19rocblas_dgmm_kernelILi16ELi16ELb0EPKPK19rocblas_complex_numIdEPKPS1_EviiT2_lllS9_lllT3_llli.num_vgpr, 18
	.set _ZL19rocblas_dgmm_kernelILi16ELi16ELb0EPKPK19rocblas_complex_numIdEPKPS1_EviiT2_lllS9_lllT3_llli.num_agpr, 0
	.set _ZL19rocblas_dgmm_kernelILi16ELi16ELb0EPKPK19rocblas_complex_numIdEPKPS1_EviiT2_lllS9_lllT3_llli.numbered_sgpr, 23
	.set _ZL19rocblas_dgmm_kernelILi16ELi16ELb0EPKPK19rocblas_complex_numIdEPKPS1_EviiT2_lllS9_lllT3_llli.num_named_barrier, 0
	.set _ZL19rocblas_dgmm_kernelILi16ELi16ELb0EPKPK19rocblas_complex_numIdEPKPS1_EviiT2_lllS9_lllT3_llli.private_seg_size, 0
	.set _ZL19rocblas_dgmm_kernelILi16ELi16ELb0EPKPK19rocblas_complex_numIdEPKPS1_EviiT2_lllS9_lllT3_llli.uses_vcc, 1
	.set _ZL19rocblas_dgmm_kernelILi16ELi16ELb0EPKPK19rocblas_complex_numIdEPKPS1_EviiT2_lllS9_lllT3_llli.uses_flat_scratch, 0
	.set _ZL19rocblas_dgmm_kernelILi16ELi16ELb0EPKPK19rocblas_complex_numIdEPKPS1_EviiT2_lllS9_lllT3_llli.has_dyn_sized_stack, 0
	.set _ZL19rocblas_dgmm_kernelILi16ELi16ELb0EPKPK19rocblas_complex_numIdEPKPS1_EviiT2_lllS9_lllT3_llli.has_recursion, 0
	.set _ZL19rocblas_dgmm_kernelILi16ELi16ELb0EPKPK19rocblas_complex_numIdEPKPS1_EviiT2_lllS9_lllT3_llli.has_indirect_call, 0
	.section	.AMDGPU.csdata,"",@progbits
; Kernel info:
; codeLenInByte = 500
; TotalNumSgprs: 27
; NumVgprs: 18
; ScratchSize: 0
; MemoryBound: 0
; FloatMode: 240
; IeeeMode: 1
; LDSByteSize: 0 bytes/workgroup (compile time only)
; SGPRBlocks: 3
; VGPRBlocks: 4
; NumSGPRsForWavesPerEU: 27
; NumVGPRsForWavesPerEU: 18
; Occupancy: 10
; WaveLimiterHint : 1
; COMPUTE_PGM_RSRC2:SCRATCH_EN: 0
; COMPUTE_PGM_RSRC2:USER_SGPR: 6
; COMPUTE_PGM_RSRC2:TRAP_HANDLER: 0
; COMPUTE_PGM_RSRC2:TGID_X_EN: 1
; COMPUTE_PGM_RSRC2:TGID_Y_EN: 1
; COMPUTE_PGM_RSRC2:TGID_Z_EN: 1
; COMPUTE_PGM_RSRC2:TIDIG_COMP_CNT: 1
	.section	.text._ZL26rocblas_dgmm_gfx942_kernelILi32ELi32ELb1EPKPK19rocblas_complex_numIdEPKPS1_EviiT2_lllS9_lllT3_lll,"axG",@progbits,_ZL26rocblas_dgmm_gfx942_kernelILi32ELi32ELb1EPKPK19rocblas_complex_numIdEPKPS1_EviiT2_lllS9_lllT3_lll,comdat
	.globl	_ZL26rocblas_dgmm_gfx942_kernelILi32ELi32ELb1EPKPK19rocblas_complex_numIdEPKPS1_EviiT2_lllS9_lllT3_lll ; -- Begin function _ZL26rocblas_dgmm_gfx942_kernelILi32ELi32ELb1EPKPK19rocblas_complex_numIdEPKPS1_EviiT2_lllS9_lllT3_lll
	.p2align	8
	.type	_ZL26rocblas_dgmm_gfx942_kernelILi32ELi32ELb1EPKPK19rocblas_complex_numIdEPKPS1_EviiT2_lllS9_lllT3_lll,@function
_ZL26rocblas_dgmm_gfx942_kernelILi32ELi32ELb1EPKPK19rocblas_complex_numIdEPKPS1_EviiT2_lllS9_lllT3_lll: ; @_ZL26rocblas_dgmm_gfx942_kernelILi32ELi32ELb1EPKPK19rocblas_complex_numIdEPKPS1_EviiT2_lllS9_lllT3_lll
; %bb.0:
	s_endpgm
	.section	.rodata,"a",@progbits
	.p2align	6, 0x0
	.amdhsa_kernel _ZL26rocblas_dgmm_gfx942_kernelILi32ELi32ELb1EPKPK19rocblas_complex_numIdEPKPS1_EviiT2_lllS9_lllT3_lll
		.amdhsa_group_segment_fixed_size 0
		.amdhsa_private_segment_fixed_size 0
		.amdhsa_kernarg_size 104
		.amdhsa_user_sgpr_count 6
		.amdhsa_user_sgpr_private_segment_buffer 1
		.amdhsa_user_sgpr_dispatch_ptr 0
		.amdhsa_user_sgpr_queue_ptr 0
		.amdhsa_user_sgpr_kernarg_segment_ptr 1
		.amdhsa_user_sgpr_dispatch_id 0
		.amdhsa_user_sgpr_flat_scratch_init 0
		.amdhsa_user_sgpr_private_segment_size 0
		.amdhsa_uses_dynamic_stack 0
		.amdhsa_system_sgpr_private_segment_wavefront_offset 0
		.amdhsa_system_sgpr_workgroup_id_x 1
		.amdhsa_system_sgpr_workgroup_id_y 0
		.amdhsa_system_sgpr_workgroup_id_z 0
		.amdhsa_system_sgpr_workgroup_info 0
		.amdhsa_system_vgpr_workitem_id 0
		.amdhsa_next_free_vgpr 1
		.amdhsa_next_free_sgpr 0
		.amdhsa_reserve_vcc 0
		.amdhsa_reserve_flat_scratch 0
		.amdhsa_float_round_mode_32 0
		.amdhsa_float_round_mode_16_64 0
		.amdhsa_float_denorm_mode_32 3
		.amdhsa_float_denorm_mode_16_64 3
		.amdhsa_dx10_clamp 1
		.amdhsa_ieee_mode 1
		.amdhsa_fp16_overflow 0
		.amdhsa_exception_fp_ieee_invalid_op 0
		.amdhsa_exception_fp_denorm_src 0
		.amdhsa_exception_fp_ieee_div_zero 0
		.amdhsa_exception_fp_ieee_overflow 0
		.amdhsa_exception_fp_ieee_underflow 0
		.amdhsa_exception_fp_ieee_inexact 0
		.amdhsa_exception_int_div_zero 0
	.end_amdhsa_kernel
	.section	.text._ZL26rocblas_dgmm_gfx942_kernelILi32ELi32ELb1EPKPK19rocblas_complex_numIdEPKPS1_EviiT2_lllS9_lllT3_lll,"axG",@progbits,_ZL26rocblas_dgmm_gfx942_kernelILi32ELi32ELb1EPKPK19rocblas_complex_numIdEPKPS1_EviiT2_lllS9_lllT3_lll,comdat
.Lfunc_end30:
	.size	_ZL26rocblas_dgmm_gfx942_kernelILi32ELi32ELb1EPKPK19rocblas_complex_numIdEPKPS1_EviiT2_lllS9_lllT3_lll, .Lfunc_end30-_ZL26rocblas_dgmm_gfx942_kernelILi32ELi32ELb1EPKPK19rocblas_complex_numIdEPKPS1_EviiT2_lllS9_lllT3_lll
                                        ; -- End function
	.set _ZL26rocblas_dgmm_gfx942_kernelILi32ELi32ELb1EPKPK19rocblas_complex_numIdEPKPS1_EviiT2_lllS9_lllT3_lll.num_vgpr, 0
	.set _ZL26rocblas_dgmm_gfx942_kernelILi32ELi32ELb1EPKPK19rocblas_complex_numIdEPKPS1_EviiT2_lllS9_lllT3_lll.num_agpr, 0
	.set _ZL26rocblas_dgmm_gfx942_kernelILi32ELi32ELb1EPKPK19rocblas_complex_numIdEPKPS1_EviiT2_lllS9_lllT3_lll.numbered_sgpr, 0
	.set _ZL26rocblas_dgmm_gfx942_kernelILi32ELi32ELb1EPKPK19rocblas_complex_numIdEPKPS1_EviiT2_lllS9_lllT3_lll.num_named_barrier, 0
	.set _ZL26rocblas_dgmm_gfx942_kernelILi32ELi32ELb1EPKPK19rocblas_complex_numIdEPKPS1_EviiT2_lllS9_lllT3_lll.private_seg_size, 0
	.set _ZL26rocblas_dgmm_gfx942_kernelILi32ELi32ELb1EPKPK19rocblas_complex_numIdEPKPS1_EviiT2_lllS9_lllT3_lll.uses_vcc, 0
	.set _ZL26rocblas_dgmm_gfx942_kernelILi32ELi32ELb1EPKPK19rocblas_complex_numIdEPKPS1_EviiT2_lllS9_lllT3_lll.uses_flat_scratch, 0
	.set _ZL26rocblas_dgmm_gfx942_kernelILi32ELi32ELb1EPKPK19rocblas_complex_numIdEPKPS1_EviiT2_lllS9_lllT3_lll.has_dyn_sized_stack, 0
	.set _ZL26rocblas_dgmm_gfx942_kernelILi32ELi32ELb1EPKPK19rocblas_complex_numIdEPKPS1_EviiT2_lllS9_lllT3_lll.has_recursion, 0
	.set _ZL26rocblas_dgmm_gfx942_kernelILi32ELi32ELb1EPKPK19rocblas_complex_numIdEPKPS1_EviiT2_lllS9_lllT3_lll.has_indirect_call, 0
	.section	.AMDGPU.csdata,"",@progbits
; Kernel info:
; codeLenInByte = 4
; TotalNumSgprs: 4
; NumVgprs: 0
; ScratchSize: 0
; MemoryBound: 0
; FloatMode: 240
; IeeeMode: 1
; LDSByteSize: 0 bytes/workgroup (compile time only)
; SGPRBlocks: 0
; VGPRBlocks: 0
; NumSGPRsForWavesPerEU: 4
; NumVGPRsForWavesPerEU: 1
; Occupancy: 10
; WaveLimiterHint : 0
; COMPUTE_PGM_RSRC2:SCRATCH_EN: 0
; COMPUTE_PGM_RSRC2:USER_SGPR: 6
; COMPUTE_PGM_RSRC2:TRAP_HANDLER: 0
; COMPUTE_PGM_RSRC2:TGID_X_EN: 1
; COMPUTE_PGM_RSRC2:TGID_Y_EN: 0
; COMPUTE_PGM_RSRC2:TGID_Z_EN: 0
; COMPUTE_PGM_RSRC2:TIDIG_COMP_CNT: 0
	.section	.text._ZL19rocblas_dgmm_kernelILi16ELi16ELb1EPKPK19rocblas_complex_numIdEPKPS1_EviiT2_lllS9_lllT3_llli,"axG",@progbits,_ZL19rocblas_dgmm_kernelILi16ELi16ELb1EPKPK19rocblas_complex_numIdEPKPS1_EviiT2_lllS9_lllT3_llli,comdat
	.globl	_ZL19rocblas_dgmm_kernelILi16ELi16ELb1EPKPK19rocblas_complex_numIdEPKPS1_EviiT2_lllS9_lllT3_llli ; -- Begin function _ZL19rocblas_dgmm_kernelILi16ELi16ELb1EPKPK19rocblas_complex_numIdEPKPS1_EviiT2_lllS9_lllT3_llli
	.p2align	8
	.type	_ZL19rocblas_dgmm_kernelILi16ELi16ELb1EPKPK19rocblas_complex_numIdEPKPS1_EviiT2_lllS9_lllT3_llli,@function
_ZL19rocblas_dgmm_kernelILi16ELi16ELb1EPKPK19rocblas_complex_numIdEPKPS1_EviiT2_lllS9_lllT3_llli: ; @_ZL19rocblas_dgmm_kernelILi16ELi16ELb1EPKPK19rocblas_complex_numIdEPKPS1_EviiT2_lllS9_lllT3_llli
; %bb.0:
	s_load_dwordx2 s[2:3], s[4:5], 0x0
	v_lshl_add_u32 v0, s6, 4, v0
	v_lshl_add_u32 v2, s7, 4, v1
	s_waitcnt lgkmcnt(0)
	v_cmp_gt_i32_e32 vcc, s2, v0
	v_cmp_gt_i32_e64 s[0:1], s3, v2
	s_and_b64 s[0:1], vcc, s[0:1]
	s_and_saveexec_b64 s[6:7], s[0:1]
	s_cbranch_execz .LBB31_3
; %bb.1:
	s_load_dwordx4 s[12:15], s[4:5], 0x8
	s_load_dwordx2 s[0:1], s[4:5], 0x18
	s_mov_b32 s9, 0
	s_lshl_b64 s[16:17], s[8:9], 3
	v_ashrrev_i32_e32 v1, 31, v0
	s_waitcnt lgkmcnt(0)
	s_add_u32 s12, s12, s16
	s_addc_u32 s13, s13, s17
	s_load_dwordx2 s[18:19], s[12:13], 0x0
	s_load_dwordx4 s[8:11], s[4:5], 0x28
	s_load_dwordx2 s[6:7], s[4:5], 0x38
	s_lshl_b64 s[12:13], s[14:15], 4
	v_lshlrev_b64 v[3:4], 4, v[0:1]
	s_waitcnt lgkmcnt(0)
	s_add_u32 s22, s18, s12
	s_addc_u32 s23, s19, s13
	s_add_u32 s18, s8, s16
	s_addc_u32 s19, s9, s17
	s_load_dwordx2 s[20:21], s[18:19], 0x0
	s_load_dwordx4 s[12:15], s[4:5], 0x48
	s_load_dwordx2 s[8:9], s[4:5], 0x58
	s_lshl_b64 s[10:11], s[10:11], 4
	s_load_dword s4, s[4:5], 0x74
	s_waitcnt lgkmcnt(0)
	s_add_u32 s2, s20, s10
	s_addc_u32 s18, s21, s11
	s_add_u32 s10, s12, s16
	s_addc_u32 s11, s13, s17
	s_load_dwordx2 s[10:11], s[10:11], 0x0
	s_lshl_b64 s[12:13], s[14:15], 4
	v_mov_b32_e32 v1, s23
	v_add_co_u32_e32 v0, vcc, s22, v3
	s_waitcnt lgkmcnt(0)
	s_add_u32 s10, s10, s12
	s_addc_u32 s11, s11, s13
	v_addc_co_u32_e32 v1, vcc, v1, v4, vcc
	v_mov_b32_e32 v5, s11
	v_add_co_u32_e32 v3, vcc, s10, v3
	v_addc_co_u32_e32 v4, vcc, v5, v4, vcc
	s_lshl_b32 s10, s4, 4
	s_mov_b64 s[4:5], 0
	v_mov_b32_e32 v5, s18
.LBB31_2:                               ; =>This Inner Loop Header: Depth=1
	v_ashrrev_i32_e32 v18, 31, v2
	v_mul_lo_u32 v10, s1, v2
	v_mad_u64_u32 v[6:7], s[12:13], s0, v2, 0
	v_mul_lo_u32 v12, s0, v18
	v_mul_lo_u32 v11, s7, v2
	v_mad_u64_u32 v[8:9], s[12:13], s6, v2, 0
	v_mul_lo_u32 v13, s6, v18
	v_add3_u32 v7, v7, v12, v10
	v_lshlrev_b64 v[6:7], 4, v[6:7]
	v_add3_u32 v9, v9, v13, v11
	v_lshlrev_b64 v[8:9], 4, v[8:9]
	v_add_co_u32_e32 v14, vcc, v0, v6
	v_addc_co_u32_e32 v15, vcc, v1, v7, vcc
	v_add_co_u32_e32 v16, vcc, s2, v8
	v_addc_co_u32_e32 v17, vcc, v5, v9, vcc
	flat_load_dwordx4 v[6:9], v[16:17]
	flat_load_dwordx4 v[10:13], v[14:15]
	s_waitcnt vmcnt(0) lgkmcnt(0)
	v_mul_f64 v[14:15], v[8:9], v[12:13]
	v_mul_f64 v[12:13], v[6:7], v[12:13]
	v_fma_f64 v[6:7], v[6:7], v[10:11], -v[14:15]
	v_fma_f64 v[8:9], v[8:9], v[10:11], v[12:13]
	v_mul_lo_u32 v12, s9, v2
	v_mad_u64_u32 v[10:11], s[12:13], s8, v2, 0
	v_mul_lo_u32 v13, s8, v18
	v_add_u32_e32 v2, s10, v2
	v_cmp_le_i32_e32 vcc, s3, v2
	s_or_b64 s[4:5], vcc, s[4:5]
	v_add3_u32 v11, v11, v13, v12
	v_lshlrev_b64 v[10:11], 4, v[10:11]
	v_add_co_u32_e32 v10, vcc, v3, v10
	v_addc_co_u32_e32 v11, vcc, v4, v11, vcc
	flat_store_dwordx4 v[10:11], v[6:9]
	s_andn2_b64 exec, exec, s[4:5]
	s_cbranch_execnz .LBB31_2
.LBB31_3:
	s_endpgm
	.section	.rodata,"a",@progbits
	.p2align	6, 0x0
	.amdhsa_kernel _ZL19rocblas_dgmm_kernelILi16ELi16ELb1EPKPK19rocblas_complex_numIdEPKPS1_EviiT2_lllS9_lllT3_llli
		.amdhsa_group_segment_fixed_size 0
		.amdhsa_private_segment_fixed_size 0
		.amdhsa_kernarg_size 368
		.amdhsa_user_sgpr_count 6
		.amdhsa_user_sgpr_private_segment_buffer 1
		.amdhsa_user_sgpr_dispatch_ptr 0
		.amdhsa_user_sgpr_queue_ptr 0
		.amdhsa_user_sgpr_kernarg_segment_ptr 1
		.amdhsa_user_sgpr_dispatch_id 0
		.amdhsa_user_sgpr_flat_scratch_init 0
		.amdhsa_user_sgpr_private_segment_size 0
		.amdhsa_uses_dynamic_stack 0
		.amdhsa_system_sgpr_private_segment_wavefront_offset 0
		.amdhsa_system_sgpr_workgroup_id_x 1
		.amdhsa_system_sgpr_workgroup_id_y 1
		.amdhsa_system_sgpr_workgroup_id_z 1
		.amdhsa_system_sgpr_workgroup_info 0
		.amdhsa_system_vgpr_workitem_id 1
		.amdhsa_next_free_vgpr 19
		.amdhsa_next_free_sgpr 24
		.amdhsa_reserve_vcc 1
		.amdhsa_reserve_flat_scratch 0
		.amdhsa_float_round_mode_32 0
		.amdhsa_float_round_mode_16_64 0
		.amdhsa_float_denorm_mode_32 3
		.amdhsa_float_denorm_mode_16_64 3
		.amdhsa_dx10_clamp 1
		.amdhsa_ieee_mode 1
		.amdhsa_fp16_overflow 0
		.amdhsa_exception_fp_ieee_invalid_op 0
		.amdhsa_exception_fp_denorm_src 0
		.amdhsa_exception_fp_ieee_div_zero 0
		.amdhsa_exception_fp_ieee_overflow 0
		.amdhsa_exception_fp_ieee_underflow 0
		.amdhsa_exception_fp_ieee_inexact 0
		.amdhsa_exception_int_div_zero 0
	.end_amdhsa_kernel
	.section	.text._ZL19rocblas_dgmm_kernelILi16ELi16ELb1EPKPK19rocblas_complex_numIdEPKPS1_EviiT2_lllS9_lllT3_llli,"axG",@progbits,_ZL19rocblas_dgmm_kernelILi16ELi16ELb1EPKPK19rocblas_complex_numIdEPKPS1_EviiT2_lllS9_lllT3_llli,comdat
.Lfunc_end31:
	.size	_ZL19rocblas_dgmm_kernelILi16ELi16ELb1EPKPK19rocblas_complex_numIdEPKPS1_EviiT2_lllS9_lllT3_llli, .Lfunc_end31-_ZL19rocblas_dgmm_kernelILi16ELi16ELb1EPKPK19rocblas_complex_numIdEPKPS1_EviiT2_lllS9_lllT3_llli
                                        ; -- End function
	.set _ZL19rocblas_dgmm_kernelILi16ELi16ELb1EPKPK19rocblas_complex_numIdEPKPS1_EviiT2_lllS9_lllT3_llli.num_vgpr, 19
	.set _ZL19rocblas_dgmm_kernelILi16ELi16ELb1EPKPK19rocblas_complex_numIdEPKPS1_EviiT2_lllS9_lllT3_llli.num_agpr, 0
	.set _ZL19rocblas_dgmm_kernelILi16ELi16ELb1EPKPK19rocblas_complex_numIdEPKPS1_EviiT2_lllS9_lllT3_llli.numbered_sgpr, 24
	.set _ZL19rocblas_dgmm_kernelILi16ELi16ELb1EPKPK19rocblas_complex_numIdEPKPS1_EviiT2_lllS9_lllT3_llli.num_named_barrier, 0
	.set _ZL19rocblas_dgmm_kernelILi16ELi16ELb1EPKPK19rocblas_complex_numIdEPKPS1_EviiT2_lllS9_lllT3_llli.private_seg_size, 0
	.set _ZL19rocblas_dgmm_kernelILi16ELi16ELb1EPKPK19rocblas_complex_numIdEPKPS1_EviiT2_lllS9_lllT3_llli.uses_vcc, 1
	.set _ZL19rocblas_dgmm_kernelILi16ELi16ELb1EPKPK19rocblas_complex_numIdEPKPS1_EviiT2_lllS9_lllT3_llli.uses_flat_scratch, 0
	.set _ZL19rocblas_dgmm_kernelILi16ELi16ELb1EPKPK19rocblas_complex_numIdEPKPS1_EviiT2_lllS9_lllT3_llli.has_dyn_sized_stack, 0
	.set _ZL19rocblas_dgmm_kernelILi16ELi16ELb1EPKPK19rocblas_complex_numIdEPKPS1_EviiT2_lllS9_lllT3_llli.has_recursion, 0
	.set _ZL19rocblas_dgmm_kernelILi16ELi16ELb1EPKPK19rocblas_complex_numIdEPKPS1_EviiT2_lllS9_lllT3_llli.has_indirect_call, 0
	.section	.AMDGPU.csdata,"",@progbits
; Kernel info:
; codeLenInByte = 496
; TotalNumSgprs: 28
; NumVgprs: 19
; ScratchSize: 0
; MemoryBound: 0
; FloatMode: 240
; IeeeMode: 1
; LDSByteSize: 0 bytes/workgroup (compile time only)
; SGPRBlocks: 3
; VGPRBlocks: 4
; NumSGPRsForWavesPerEU: 28
; NumVGPRsForWavesPerEU: 19
; Occupancy: 10
; WaveLimiterHint : 1
; COMPUTE_PGM_RSRC2:SCRATCH_EN: 0
; COMPUTE_PGM_RSRC2:USER_SGPR: 6
; COMPUTE_PGM_RSRC2:TRAP_HANDLER: 0
; COMPUTE_PGM_RSRC2:TGID_X_EN: 1
; COMPUTE_PGM_RSRC2:TGID_Y_EN: 1
; COMPUTE_PGM_RSRC2:TGID_Z_EN: 1
; COMPUTE_PGM_RSRC2:TIDIG_COMP_CNT: 1
	.section	.AMDGPU.gpr_maximums,"",@progbits
	.set amdgpu.max_num_vgpr, 0
	.set amdgpu.max_num_agpr, 0
	.set amdgpu.max_num_sgpr, 0
	.section	.AMDGPU.csdata,"",@progbits
	.type	__hip_cuid_d805cfb764e6f969,@object ; @__hip_cuid_d805cfb764e6f969
	.section	.bss,"aw",@nobits
	.globl	__hip_cuid_d805cfb764e6f969
__hip_cuid_d805cfb764e6f969:
	.byte	0                               ; 0x0
	.size	__hip_cuid_d805cfb764e6f969, 1

	.ident	"AMD clang version 22.0.0git (https://github.com/RadeonOpenCompute/llvm-project roc-7.2.4 26084 f58b06dce1f9c15707c5f808fd002e18c2accf7e)"
	.section	".note.GNU-stack","",@progbits
	.addrsig
	.addrsig_sym __hip_cuid_d805cfb764e6f969
	.amdgpu_metadata
---
amdhsa.kernels:
  - .args:
      - .offset:         0
        .size:           4
        .value_kind:     by_value
      - .offset:         4
        .size:           4
        .value_kind:     by_value
      - .address_space:  global
        .offset:         8
        .size:           8
        .value_kind:     global_buffer
      - .offset:         16
        .size:           8
        .value_kind:     by_value
      - .offset:         24
        .size:           8
        .value_kind:     by_value
      - .offset:         32
        .size:           8
        .value_kind:     by_value
      - .address_space:  global
        .offset:         40
        .size:           8
        .value_kind:     global_buffer
      - .offset:         48
        .size:           8
        .value_kind:     by_value
      - .offset:         56
        .size:           8
        .value_kind:     by_value
      - .offset:         64
        .size:           8
        .value_kind:     by_value
      - .address_space:  global
        .offset:         72
        .size:           8
        .value_kind:     global_buffer
      - .offset:         80
        .size:           8
        .value_kind:     by_value
      - .offset:         88
        .size:           8
        .value_kind:     by_value
      - .offset:         96
        .size:           8
        .value_kind:     by_value
    .group_segment_fixed_size: 0
    .kernarg_segment_align: 8
    .kernarg_segment_size: 104
    .language:       OpenCL C
    .language_version:
      - 2
      - 0
    .max_flat_workgroup_size: 1024
    .name:           _ZL26rocblas_dgmm_gfx942_kernelILi32ELi32ELb0EPKfPfEviiT2_lllS3_lllT3_lll
    .private_segment_fixed_size: 0
    .sgpr_count:     4
    .sgpr_spill_count: 0
    .symbol:         _ZL26rocblas_dgmm_gfx942_kernelILi32ELi32ELb0EPKfPfEviiT2_lllS3_lllT3_lll.kd
    .uniform_work_group_size: 1
    .uses_dynamic_stack: false
    .vgpr_count:     0
    .vgpr_spill_count: 0
    .wavefront_size: 64
  - .args:
      - .offset:         0
        .size:           4
        .value_kind:     by_value
      - .offset:         4
        .size:           4
        .value_kind:     by_value
      - .address_space:  global
        .offset:         8
        .size:           8
        .value_kind:     global_buffer
      - .offset:         16
        .size:           8
        .value_kind:     by_value
      - .offset:         24
        .size:           8
        .value_kind:     by_value
      - .offset:         32
        .size:           8
        .value_kind:     by_value
      - .address_space:  global
        .offset:         40
        .size:           8
        .value_kind:     global_buffer
      - .offset:         48
        .size:           8
        .value_kind:     by_value
      - .offset:         56
        .size:           8
        .value_kind:     by_value
      - .offset:         64
        .size:           8
        .value_kind:     by_value
      - .address_space:  global
        .offset:         72
        .size:           8
        .value_kind:     global_buffer
      - .offset:         80
        .size:           8
        .value_kind:     by_value
      - .offset:         88
        .size:           8
        .value_kind:     by_value
      - .offset:         96
        .size:           8
        .value_kind:     by_value
      - .offset:         104
        .size:           4
        .value_kind:     by_value
      - .offset:         112
        .size:           4
        .value_kind:     hidden_block_count_x
      - .offset:         116
        .size:           4
        .value_kind:     hidden_block_count_y
      - .offset:         120
        .size:           4
        .value_kind:     hidden_block_count_z
      - .offset:         124
        .size:           2
        .value_kind:     hidden_group_size_x
      - .offset:         126
        .size:           2
        .value_kind:     hidden_group_size_y
      - .offset:         128
        .size:           2
        .value_kind:     hidden_group_size_z
      - .offset:         130
        .size:           2
        .value_kind:     hidden_remainder_x
      - .offset:         132
        .size:           2
        .value_kind:     hidden_remainder_y
      - .offset:         134
        .size:           2
        .value_kind:     hidden_remainder_z
      - .offset:         152
        .size:           8
        .value_kind:     hidden_global_offset_x
      - .offset:         160
        .size:           8
        .value_kind:     hidden_global_offset_y
      - .offset:         168
        .size:           8
        .value_kind:     hidden_global_offset_z
      - .offset:         176
        .size:           2
        .value_kind:     hidden_grid_dims
    .group_segment_fixed_size: 0
    .kernarg_segment_align: 8
    .kernarg_segment_size: 368
    .language:       OpenCL C
    .language_version:
      - 2
      - 0
    .max_flat_workgroup_size: 256
    .name:           _ZL19rocblas_dgmm_kernelILi16ELi16ELb0EPKfPfEviiT2_lllS3_lllT3_llli
    .private_segment_fixed_size: 0
    .sgpr_count:     48
    .sgpr_spill_count: 0
    .symbol:         _ZL19rocblas_dgmm_kernelILi16ELi16ELb0EPKfPfEviiT2_lllS3_lllT3_llli.kd
    .uniform_work_group_size: 1
    .uses_dynamic_stack: false
    .vgpr_count:     13
    .vgpr_spill_count: 0
    .wavefront_size: 64
  - .args:
      - .offset:         0
        .size:           4
        .value_kind:     by_value
      - .offset:         4
        .size:           4
        .value_kind:     by_value
      - .address_space:  global
        .offset:         8
        .size:           8
        .value_kind:     global_buffer
      - .offset:         16
        .size:           8
        .value_kind:     by_value
      - .offset:         24
        .size:           8
        .value_kind:     by_value
      - .offset:         32
        .size:           8
        .value_kind:     by_value
      - .address_space:  global
        .offset:         40
        .size:           8
        .value_kind:     global_buffer
      - .offset:         48
        .size:           8
        .value_kind:     by_value
      - .offset:         56
        .size:           8
        .value_kind:     by_value
      - .offset:         64
        .size:           8
        .value_kind:     by_value
      - .address_space:  global
        .offset:         72
        .size:           8
        .value_kind:     global_buffer
      - .offset:         80
        .size:           8
        .value_kind:     by_value
      - .offset:         88
        .size:           8
        .value_kind:     by_value
      - .offset:         96
        .size:           8
        .value_kind:     by_value
    .group_segment_fixed_size: 0
    .kernarg_segment_align: 8
    .kernarg_segment_size: 104
    .language:       OpenCL C
    .language_version:
      - 2
      - 0
    .max_flat_workgroup_size: 1024
    .name:           _ZL26rocblas_dgmm_gfx942_kernelILi32ELi32ELb1EPKfPfEviiT2_lllS3_lllT3_lll
    .private_segment_fixed_size: 0
    .sgpr_count:     4
    .sgpr_spill_count: 0
    .symbol:         _ZL26rocblas_dgmm_gfx942_kernelILi32ELi32ELb1EPKfPfEviiT2_lllS3_lllT3_lll.kd
    .uniform_work_group_size: 1
    .uses_dynamic_stack: false
    .vgpr_count:     0
    .vgpr_spill_count: 0
    .wavefront_size: 64
  - .args:
      - .offset:         0
        .size:           4
        .value_kind:     by_value
      - .offset:         4
        .size:           4
        .value_kind:     by_value
      - .address_space:  global
        .offset:         8
        .size:           8
        .value_kind:     global_buffer
      - .offset:         16
        .size:           8
        .value_kind:     by_value
      - .offset:         24
        .size:           8
        .value_kind:     by_value
      - .offset:         32
        .size:           8
        .value_kind:     by_value
      - .address_space:  global
        .offset:         40
        .size:           8
        .value_kind:     global_buffer
      - .offset:         48
        .size:           8
        .value_kind:     by_value
      - .offset:         56
        .size:           8
        .value_kind:     by_value
      - .offset:         64
        .size:           8
        .value_kind:     by_value
      - .address_space:  global
        .offset:         72
        .size:           8
        .value_kind:     global_buffer
      - .offset:         80
        .size:           8
        .value_kind:     by_value
      - .offset:         88
        .size:           8
        .value_kind:     by_value
      - .offset:         96
        .size:           8
        .value_kind:     by_value
      - .offset:         104
        .size:           4
        .value_kind:     by_value
      - .offset:         112
        .size:           4
        .value_kind:     hidden_block_count_x
      - .offset:         116
        .size:           4
        .value_kind:     hidden_block_count_y
      - .offset:         120
        .size:           4
        .value_kind:     hidden_block_count_z
      - .offset:         124
        .size:           2
        .value_kind:     hidden_group_size_x
      - .offset:         126
        .size:           2
        .value_kind:     hidden_group_size_y
      - .offset:         128
        .size:           2
        .value_kind:     hidden_group_size_z
      - .offset:         130
        .size:           2
        .value_kind:     hidden_remainder_x
      - .offset:         132
        .size:           2
        .value_kind:     hidden_remainder_y
      - .offset:         134
        .size:           2
        .value_kind:     hidden_remainder_z
      - .offset:         152
        .size:           8
        .value_kind:     hidden_global_offset_x
      - .offset:         160
        .size:           8
        .value_kind:     hidden_global_offset_y
      - .offset:         168
        .size:           8
        .value_kind:     hidden_global_offset_z
      - .offset:         176
        .size:           2
        .value_kind:     hidden_grid_dims
    .group_segment_fixed_size: 0
    .kernarg_segment_align: 8
    .kernarg_segment_size: 368
    .language:       OpenCL C
    .language_version:
      - 2
      - 0
    .max_flat_workgroup_size: 256
    .name:           _ZL19rocblas_dgmm_kernelILi16ELi16ELb1EPKfPfEviiT2_lllS3_lllT3_llli
    .private_segment_fixed_size: 0
    .sgpr_count:     48
    .sgpr_spill_count: 0
    .symbol:         _ZL19rocblas_dgmm_kernelILi16ELi16ELb1EPKfPfEviiT2_lllS3_lllT3_llli.kd
    .uniform_work_group_size: 1
    .uses_dynamic_stack: false
    .vgpr_count:     15
    .vgpr_spill_count: 0
    .wavefront_size: 64
  - .args:
      - .offset:         0
        .size:           4
        .value_kind:     by_value
      - .offset:         4
        .size:           4
        .value_kind:     by_value
      - .address_space:  global
        .offset:         8
        .size:           8
        .value_kind:     global_buffer
      - .offset:         16
        .size:           8
        .value_kind:     by_value
      - .offset:         24
        .size:           8
        .value_kind:     by_value
      - .offset:         32
        .size:           8
        .value_kind:     by_value
      - .address_space:  global
        .offset:         40
        .size:           8
        .value_kind:     global_buffer
      - .offset:         48
        .size:           8
        .value_kind:     by_value
      - .offset:         56
        .size:           8
        .value_kind:     by_value
      - .offset:         64
        .size:           8
        .value_kind:     by_value
      - .address_space:  global
        .offset:         72
        .size:           8
        .value_kind:     global_buffer
      - .offset:         80
        .size:           8
        .value_kind:     by_value
      - .offset:         88
        .size:           8
        .value_kind:     by_value
      - .offset:         96
        .size:           8
        .value_kind:     by_value
    .group_segment_fixed_size: 0
    .kernarg_segment_align: 8
    .kernarg_segment_size: 104
    .language:       OpenCL C
    .language_version:
      - 2
      - 0
    .max_flat_workgroup_size: 1024
    .name:           _ZL26rocblas_dgmm_gfx942_kernelILi32ELi32ELb0EPKdPdEviiT2_lllS3_lllT3_lll
    .private_segment_fixed_size: 0
    .sgpr_count:     4
    .sgpr_spill_count: 0
    .symbol:         _ZL26rocblas_dgmm_gfx942_kernelILi32ELi32ELb0EPKdPdEviiT2_lllS3_lllT3_lll.kd
    .uniform_work_group_size: 1
    .uses_dynamic_stack: false
    .vgpr_count:     0
    .vgpr_spill_count: 0
    .wavefront_size: 64
  - .args:
      - .offset:         0
        .size:           4
        .value_kind:     by_value
      - .offset:         4
        .size:           4
        .value_kind:     by_value
      - .address_space:  global
        .offset:         8
        .size:           8
        .value_kind:     global_buffer
      - .offset:         16
        .size:           8
        .value_kind:     by_value
      - .offset:         24
        .size:           8
        .value_kind:     by_value
      - .offset:         32
        .size:           8
        .value_kind:     by_value
      - .address_space:  global
        .offset:         40
        .size:           8
        .value_kind:     global_buffer
      - .offset:         48
        .size:           8
        .value_kind:     by_value
      - .offset:         56
        .size:           8
        .value_kind:     by_value
      - .offset:         64
        .size:           8
        .value_kind:     by_value
      - .address_space:  global
        .offset:         72
        .size:           8
        .value_kind:     global_buffer
      - .offset:         80
        .size:           8
        .value_kind:     by_value
      - .offset:         88
        .size:           8
        .value_kind:     by_value
      - .offset:         96
        .size:           8
        .value_kind:     by_value
      - .offset:         104
        .size:           4
        .value_kind:     by_value
      - .offset:         112
        .size:           4
        .value_kind:     hidden_block_count_x
      - .offset:         116
        .size:           4
        .value_kind:     hidden_block_count_y
      - .offset:         120
        .size:           4
        .value_kind:     hidden_block_count_z
      - .offset:         124
        .size:           2
        .value_kind:     hidden_group_size_x
      - .offset:         126
        .size:           2
        .value_kind:     hidden_group_size_y
      - .offset:         128
        .size:           2
        .value_kind:     hidden_group_size_z
      - .offset:         130
        .size:           2
        .value_kind:     hidden_remainder_x
      - .offset:         132
        .size:           2
        .value_kind:     hidden_remainder_y
      - .offset:         134
        .size:           2
        .value_kind:     hidden_remainder_z
      - .offset:         152
        .size:           8
        .value_kind:     hidden_global_offset_x
      - .offset:         160
        .size:           8
        .value_kind:     hidden_global_offset_y
      - .offset:         168
        .size:           8
        .value_kind:     hidden_global_offset_z
      - .offset:         176
        .size:           2
        .value_kind:     hidden_grid_dims
    .group_segment_fixed_size: 0
    .kernarg_segment_align: 8
    .kernarg_segment_size: 368
    .language:       OpenCL C
    .language_version:
      - 2
      - 0
    .max_flat_workgroup_size: 256
    .name:           _ZL19rocblas_dgmm_kernelILi16ELi16ELb0EPKdPdEviiT2_lllS3_lllT3_llli
    .private_segment_fixed_size: 0
    .sgpr_count:     48
    .sgpr_spill_count: 0
    .symbol:         _ZL19rocblas_dgmm_kernelILi16ELi16ELb0EPKdPdEviiT2_lllS3_lllT3_llli.kd
    .uniform_work_group_size: 1
    .uses_dynamic_stack: false
    .vgpr_count:     15
    .vgpr_spill_count: 0
    .wavefront_size: 64
  - .args:
      - .offset:         0
        .size:           4
        .value_kind:     by_value
      - .offset:         4
        .size:           4
        .value_kind:     by_value
      - .address_space:  global
        .offset:         8
        .size:           8
        .value_kind:     global_buffer
      - .offset:         16
        .size:           8
        .value_kind:     by_value
      - .offset:         24
        .size:           8
        .value_kind:     by_value
      - .offset:         32
        .size:           8
        .value_kind:     by_value
      - .address_space:  global
        .offset:         40
        .size:           8
        .value_kind:     global_buffer
      - .offset:         48
        .size:           8
        .value_kind:     by_value
      - .offset:         56
        .size:           8
        .value_kind:     by_value
      - .offset:         64
        .size:           8
        .value_kind:     by_value
      - .address_space:  global
        .offset:         72
        .size:           8
        .value_kind:     global_buffer
      - .offset:         80
        .size:           8
        .value_kind:     by_value
      - .offset:         88
        .size:           8
        .value_kind:     by_value
      - .offset:         96
        .size:           8
        .value_kind:     by_value
    .group_segment_fixed_size: 0
    .kernarg_segment_align: 8
    .kernarg_segment_size: 104
    .language:       OpenCL C
    .language_version:
      - 2
      - 0
    .max_flat_workgroup_size: 1024
    .name:           _ZL26rocblas_dgmm_gfx942_kernelILi32ELi32ELb1EPKdPdEviiT2_lllS3_lllT3_lll
    .private_segment_fixed_size: 0
    .sgpr_count:     4
    .sgpr_spill_count: 0
    .symbol:         _ZL26rocblas_dgmm_gfx942_kernelILi32ELi32ELb1EPKdPdEviiT2_lllS3_lllT3_lll.kd
    .uniform_work_group_size: 1
    .uses_dynamic_stack: false
    .vgpr_count:     0
    .vgpr_spill_count: 0
    .wavefront_size: 64
  - .args:
      - .offset:         0
        .size:           4
        .value_kind:     by_value
      - .offset:         4
        .size:           4
        .value_kind:     by_value
      - .address_space:  global
        .offset:         8
        .size:           8
        .value_kind:     global_buffer
      - .offset:         16
        .size:           8
        .value_kind:     by_value
      - .offset:         24
        .size:           8
        .value_kind:     by_value
      - .offset:         32
        .size:           8
        .value_kind:     by_value
      - .address_space:  global
        .offset:         40
        .size:           8
        .value_kind:     global_buffer
      - .offset:         48
        .size:           8
        .value_kind:     by_value
      - .offset:         56
        .size:           8
        .value_kind:     by_value
      - .offset:         64
        .size:           8
        .value_kind:     by_value
      - .address_space:  global
        .offset:         72
        .size:           8
        .value_kind:     global_buffer
      - .offset:         80
        .size:           8
        .value_kind:     by_value
      - .offset:         88
        .size:           8
        .value_kind:     by_value
      - .offset:         96
        .size:           8
        .value_kind:     by_value
      - .offset:         104
        .size:           4
        .value_kind:     by_value
      - .offset:         112
        .size:           4
        .value_kind:     hidden_block_count_x
      - .offset:         116
        .size:           4
        .value_kind:     hidden_block_count_y
      - .offset:         120
        .size:           4
        .value_kind:     hidden_block_count_z
      - .offset:         124
        .size:           2
        .value_kind:     hidden_group_size_x
      - .offset:         126
        .size:           2
        .value_kind:     hidden_group_size_y
      - .offset:         128
        .size:           2
        .value_kind:     hidden_group_size_z
      - .offset:         130
        .size:           2
        .value_kind:     hidden_remainder_x
      - .offset:         132
        .size:           2
        .value_kind:     hidden_remainder_y
      - .offset:         134
        .size:           2
        .value_kind:     hidden_remainder_z
      - .offset:         152
        .size:           8
        .value_kind:     hidden_global_offset_x
      - .offset:         160
        .size:           8
        .value_kind:     hidden_global_offset_y
      - .offset:         168
        .size:           8
        .value_kind:     hidden_global_offset_z
      - .offset:         176
        .size:           2
        .value_kind:     hidden_grid_dims
    .group_segment_fixed_size: 0
    .kernarg_segment_align: 8
    .kernarg_segment_size: 368
    .language:       OpenCL C
    .language_version:
      - 2
      - 0
    .max_flat_workgroup_size: 256
    .name:           _ZL19rocblas_dgmm_kernelILi16ELi16ELb1EPKdPdEviiT2_lllS3_lllT3_llli
    .private_segment_fixed_size: 0
    .sgpr_count:     48
    .sgpr_spill_count: 0
    .symbol:         _ZL19rocblas_dgmm_kernelILi16ELi16ELb1EPKdPdEviiT2_lllS3_lllT3_llli.kd
    .uniform_work_group_size: 1
    .uses_dynamic_stack: false
    .vgpr_count:     16
    .vgpr_spill_count: 0
    .wavefront_size: 64
  - .args:
      - .offset:         0
        .size:           4
        .value_kind:     by_value
      - .offset:         4
        .size:           4
        .value_kind:     by_value
      - .address_space:  global
        .offset:         8
        .size:           8
        .value_kind:     global_buffer
      - .offset:         16
        .size:           8
        .value_kind:     by_value
      - .offset:         24
        .size:           8
        .value_kind:     by_value
      - .offset:         32
        .size:           8
        .value_kind:     by_value
      - .address_space:  global
        .offset:         40
        .size:           8
        .value_kind:     global_buffer
      - .offset:         48
        .size:           8
        .value_kind:     by_value
      - .offset:         56
        .size:           8
        .value_kind:     by_value
      - .offset:         64
        .size:           8
        .value_kind:     by_value
      - .address_space:  global
        .offset:         72
        .size:           8
        .value_kind:     global_buffer
      - .offset:         80
        .size:           8
        .value_kind:     by_value
      - .offset:         88
        .size:           8
        .value_kind:     by_value
      - .offset:         96
        .size:           8
        .value_kind:     by_value
    .group_segment_fixed_size: 0
    .kernarg_segment_align: 8
    .kernarg_segment_size: 104
    .language:       OpenCL C
    .language_version:
      - 2
      - 0
    .max_flat_workgroup_size: 1024
    .name:           _ZL26rocblas_dgmm_gfx942_kernelILi32ELi32ELb0EPK19rocblas_complex_numIfEPS1_EviiT2_lllS5_lllT3_lll
    .private_segment_fixed_size: 0
    .sgpr_count:     4
    .sgpr_spill_count: 0
    .symbol:         _ZL26rocblas_dgmm_gfx942_kernelILi32ELi32ELb0EPK19rocblas_complex_numIfEPS1_EviiT2_lllS5_lllT3_lll.kd
    .uniform_work_group_size: 1
    .uses_dynamic_stack: false
    .vgpr_count:     0
    .vgpr_spill_count: 0
    .wavefront_size: 64
  - .args:
      - .offset:         0
        .size:           4
        .value_kind:     by_value
      - .offset:         4
        .size:           4
        .value_kind:     by_value
      - .address_space:  global
        .offset:         8
        .size:           8
        .value_kind:     global_buffer
      - .offset:         16
        .size:           8
        .value_kind:     by_value
      - .offset:         24
        .size:           8
        .value_kind:     by_value
      - .offset:         32
        .size:           8
        .value_kind:     by_value
      - .address_space:  global
        .offset:         40
        .size:           8
        .value_kind:     global_buffer
      - .offset:         48
        .size:           8
        .value_kind:     by_value
      - .offset:         56
        .size:           8
        .value_kind:     by_value
      - .offset:         64
        .size:           8
        .value_kind:     by_value
      - .address_space:  global
        .offset:         72
        .size:           8
        .value_kind:     global_buffer
      - .offset:         80
        .size:           8
        .value_kind:     by_value
      - .offset:         88
        .size:           8
        .value_kind:     by_value
      - .offset:         96
        .size:           8
        .value_kind:     by_value
      - .offset:         104
        .size:           4
        .value_kind:     by_value
      - .offset:         112
        .size:           4
        .value_kind:     hidden_block_count_x
      - .offset:         116
        .size:           4
        .value_kind:     hidden_block_count_y
      - .offset:         120
        .size:           4
        .value_kind:     hidden_block_count_z
      - .offset:         124
        .size:           2
        .value_kind:     hidden_group_size_x
      - .offset:         126
        .size:           2
        .value_kind:     hidden_group_size_y
      - .offset:         128
        .size:           2
        .value_kind:     hidden_group_size_z
      - .offset:         130
        .size:           2
        .value_kind:     hidden_remainder_x
      - .offset:         132
        .size:           2
        .value_kind:     hidden_remainder_y
      - .offset:         134
        .size:           2
        .value_kind:     hidden_remainder_z
      - .offset:         152
        .size:           8
        .value_kind:     hidden_global_offset_x
      - .offset:         160
        .size:           8
        .value_kind:     hidden_global_offset_y
      - .offset:         168
        .size:           8
        .value_kind:     hidden_global_offset_z
      - .offset:         176
        .size:           2
        .value_kind:     hidden_grid_dims
    .group_segment_fixed_size: 0
    .kernarg_segment_align: 8
    .kernarg_segment_size: 368
    .language:       OpenCL C
    .language_version:
      - 2
      - 0
    .max_flat_workgroup_size: 256
    .name:           _ZL19rocblas_dgmm_kernelILi16ELi16ELb0EPK19rocblas_complex_numIfEPS1_EviiT2_lllS5_lllT3_llli
    .private_segment_fixed_size: 0
    .sgpr_count:     48
    .sgpr_spill_count: 0
    .symbol:         _ZL19rocblas_dgmm_kernelILi16ELi16ELb0EPK19rocblas_complex_numIfEPS1_EviiT2_lllS5_lllT3_llli.kd
    .uniform_work_group_size: 1
    .uses_dynamic_stack: false
    .vgpr_count:     15
    .vgpr_spill_count: 0
    .wavefront_size: 64
  - .args:
      - .offset:         0
        .size:           4
        .value_kind:     by_value
      - .offset:         4
        .size:           4
        .value_kind:     by_value
      - .address_space:  global
        .offset:         8
        .size:           8
        .value_kind:     global_buffer
      - .offset:         16
        .size:           8
        .value_kind:     by_value
      - .offset:         24
        .size:           8
        .value_kind:     by_value
      - .offset:         32
        .size:           8
        .value_kind:     by_value
      - .address_space:  global
        .offset:         40
        .size:           8
        .value_kind:     global_buffer
      - .offset:         48
        .size:           8
        .value_kind:     by_value
      - .offset:         56
        .size:           8
        .value_kind:     by_value
      - .offset:         64
        .size:           8
        .value_kind:     by_value
      - .address_space:  global
        .offset:         72
        .size:           8
        .value_kind:     global_buffer
      - .offset:         80
        .size:           8
        .value_kind:     by_value
      - .offset:         88
        .size:           8
        .value_kind:     by_value
      - .offset:         96
        .size:           8
        .value_kind:     by_value
    .group_segment_fixed_size: 0
    .kernarg_segment_align: 8
    .kernarg_segment_size: 104
    .language:       OpenCL C
    .language_version:
      - 2
      - 0
    .max_flat_workgroup_size: 1024
    .name:           _ZL26rocblas_dgmm_gfx942_kernelILi32ELi32ELb1EPK19rocblas_complex_numIfEPS1_EviiT2_lllS5_lllT3_lll
    .private_segment_fixed_size: 0
    .sgpr_count:     4
    .sgpr_spill_count: 0
    .symbol:         _ZL26rocblas_dgmm_gfx942_kernelILi32ELi32ELb1EPK19rocblas_complex_numIfEPS1_EviiT2_lllS5_lllT3_lll.kd
    .uniform_work_group_size: 1
    .uses_dynamic_stack: false
    .vgpr_count:     0
    .vgpr_spill_count: 0
    .wavefront_size: 64
  - .args:
      - .offset:         0
        .size:           4
        .value_kind:     by_value
      - .offset:         4
        .size:           4
        .value_kind:     by_value
      - .address_space:  global
        .offset:         8
        .size:           8
        .value_kind:     global_buffer
      - .offset:         16
        .size:           8
        .value_kind:     by_value
      - .offset:         24
        .size:           8
        .value_kind:     by_value
      - .offset:         32
        .size:           8
        .value_kind:     by_value
      - .address_space:  global
        .offset:         40
        .size:           8
        .value_kind:     global_buffer
      - .offset:         48
        .size:           8
        .value_kind:     by_value
      - .offset:         56
        .size:           8
        .value_kind:     by_value
      - .offset:         64
        .size:           8
        .value_kind:     by_value
      - .address_space:  global
        .offset:         72
        .size:           8
        .value_kind:     global_buffer
      - .offset:         80
        .size:           8
        .value_kind:     by_value
      - .offset:         88
        .size:           8
        .value_kind:     by_value
      - .offset:         96
        .size:           8
        .value_kind:     by_value
      - .offset:         104
        .size:           4
        .value_kind:     by_value
      - .offset:         112
        .size:           4
        .value_kind:     hidden_block_count_x
      - .offset:         116
        .size:           4
        .value_kind:     hidden_block_count_y
      - .offset:         120
        .size:           4
        .value_kind:     hidden_block_count_z
      - .offset:         124
        .size:           2
        .value_kind:     hidden_group_size_x
      - .offset:         126
        .size:           2
        .value_kind:     hidden_group_size_y
      - .offset:         128
        .size:           2
        .value_kind:     hidden_group_size_z
      - .offset:         130
        .size:           2
        .value_kind:     hidden_remainder_x
      - .offset:         132
        .size:           2
        .value_kind:     hidden_remainder_y
      - .offset:         134
        .size:           2
        .value_kind:     hidden_remainder_z
      - .offset:         152
        .size:           8
        .value_kind:     hidden_global_offset_x
      - .offset:         160
        .size:           8
        .value_kind:     hidden_global_offset_y
      - .offset:         168
        .size:           8
        .value_kind:     hidden_global_offset_z
      - .offset:         176
        .size:           2
        .value_kind:     hidden_grid_dims
    .group_segment_fixed_size: 0
    .kernarg_segment_align: 8
    .kernarg_segment_size: 368
    .language:       OpenCL C
    .language_version:
      - 2
      - 0
    .max_flat_workgroup_size: 256
    .name:           _ZL19rocblas_dgmm_kernelILi16ELi16ELb1EPK19rocblas_complex_numIfEPS1_EviiT2_lllS5_lllT3_llli
    .private_segment_fixed_size: 0
    .sgpr_count:     48
    .sgpr_spill_count: 0
    .symbol:         _ZL19rocblas_dgmm_kernelILi16ELi16ELb1EPK19rocblas_complex_numIfEPS1_EviiT2_lllS5_lllT3_llli.kd
    .uniform_work_group_size: 1
    .uses_dynamic_stack: false
    .vgpr_count:     15
    .vgpr_spill_count: 0
    .wavefront_size: 64
  - .args:
      - .offset:         0
        .size:           4
        .value_kind:     by_value
      - .offset:         4
        .size:           4
        .value_kind:     by_value
      - .address_space:  global
        .offset:         8
        .size:           8
        .value_kind:     global_buffer
      - .offset:         16
        .size:           8
        .value_kind:     by_value
      - .offset:         24
        .size:           8
        .value_kind:     by_value
      - .offset:         32
        .size:           8
        .value_kind:     by_value
      - .address_space:  global
        .offset:         40
        .size:           8
        .value_kind:     global_buffer
      - .offset:         48
        .size:           8
        .value_kind:     by_value
      - .offset:         56
        .size:           8
        .value_kind:     by_value
      - .offset:         64
        .size:           8
        .value_kind:     by_value
      - .address_space:  global
        .offset:         72
        .size:           8
        .value_kind:     global_buffer
      - .offset:         80
        .size:           8
        .value_kind:     by_value
      - .offset:         88
        .size:           8
        .value_kind:     by_value
      - .offset:         96
        .size:           8
        .value_kind:     by_value
    .group_segment_fixed_size: 0
    .kernarg_segment_align: 8
    .kernarg_segment_size: 104
    .language:       OpenCL C
    .language_version:
      - 2
      - 0
    .max_flat_workgroup_size: 1024
    .name:           _ZL26rocblas_dgmm_gfx942_kernelILi32ELi32ELb0EPK19rocblas_complex_numIdEPS1_EviiT2_lllS5_lllT3_lll
    .private_segment_fixed_size: 0
    .sgpr_count:     4
    .sgpr_spill_count: 0
    .symbol:         _ZL26rocblas_dgmm_gfx942_kernelILi32ELi32ELb0EPK19rocblas_complex_numIdEPS1_EviiT2_lllS5_lllT3_lll.kd
    .uniform_work_group_size: 1
    .uses_dynamic_stack: false
    .vgpr_count:     0
    .vgpr_spill_count: 0
    .wavefront_size: 64
  - .args:
      - .offset:         0
        .size:           4
        .value_kind:     by_value
      - .offset:         4
        .size:           4
        .value_kind:     by_value
      - .address_space:  global
        .offset:         8
        .size:           8
        .value_kind:     global_buffer
      - .offset:         16
        .size:           8
        .value_kind:     by_value
      - .offset:         24
        .size:           8
        .value_kind:     by_value
      - .offset:         32
        .size:           8
        .value_kind:     by_value
      - .address_space:  global
        .offset:         40
        .size:           8
        .value_kind:     global_buffer
      - .offset:         48
        .size:           8
        .value_kind:     by_value
      - .offset:         56
        .size:           8
        .value_kind:     by_value
      - .offset:         64
        .size:           8
        .value_kind:     by_value
      - .address_space:  global
        .offset:         72
        .size:           8
        .value_kind:     global_buffer
      - .offset:         80
        .size:           8
        .value_kind:     by_value
      - .offset:         88
        .size:           8
        .value_kind:     by_value
      - .offset:         96
        .size:           8
        .value_kind:     by_value
      - .offset:         104
        .size:           4
        .value_kind:     by_value
      - .offset:         112
        .size:           4
        .value_kind:     hidden_block_count_x
      - .offset:         116
        .size:           4
        .value_kind:     hidden_block_count_y
      - .offset:         120
        .size:           4
        .value_kind:     hidden_block_count_z
      - .offset:         124
        .size:           2
        .value_kind:     hidden_group_size_x
      - .offset:         126
        .size:           2
        .value_kind:     hidden_group_size_y
      - .offset:         128
        .size:           2
        .value_kind:     hidden_group_size_z
      - .offset:         130
        .size:           2
        .value_kind:     hidden_remainder_x
      - .offset:         132
        .size:           2
        .value_kind:     hidden_remainder_y
      - .offset:         134
        .size:           2
        .value_kind:     hidden_remainder_z
      - .offset:         152
        .size:           8
        .value_kind:     hidden_global_offset_x
      - .offset:         160
        .size:           8
        .value_kind:     hidden_global_offset_y
      - .offset:         168
        .size:           8
        .value_kind:     hidden_global_offset_z
      - .offset:         176
        .size:           2
        .value_kind:     hidden_grid_dims
    .group_segment_fixed_size: 0
    .kernarg_segment_align: 8
    .kernarg_segment_size: 368
    .language:       OpenCL C
    .language_version:
      - 2
      - 0
    .max_flat_workgroup_size: 256
    .name:           _ZL19rocblas_dgmm_kernelILi16ELi16ELb0EPK19rocblas_complex_numIdEPS1_EviiT2_lllS5_lllT3_llli
    .private_segment_fixed_size: 0
    .sgpr_count:     48
    .sgpr_spill_count: 0
    .symbol:         _ZL19rocblas_dgmm_kernelILi16ELi16ELb0EPK19rocblas_complex_numIdEPS1_EviiT2_lllS5_lllT3_llli.kd
    .uniform_work_group_size: 1
    .uses_dynamic_stack: false
    .vgpr_count:     18
    .vgpr_spill_count: 0
    .wavefront_size: 64
  - .args:
      - .offset:         0
        .size:           4
        .value_kind:     by_value
      - .offset:         4
        .size:           4
        .value_kind:     by_value
      - .address_space:  global
        .offset:         8
        .size:           8
        .value_kind:     global_buffer
      - .offset:         16
        .size:           8
        .value_kind:     by_value
      - .offset:         24
        .size:           8
        .value_kind:     by_value
      - .offset:         32
        .size:           8
        .value_kind:     by_value
      - .address_space:  global
        .offset:         40
        .size:           8
        .value_kind:     global_buffer
      - .offset:         48
        .size:           8
        .value_kind:     by_value
      - .offset:         56
        .size:           8
        .value_kind:     by_value
      - .offset:         64
        .size:           8
        .value_kind:     by_value
      - .address_space:  global
        .offset:         72
        .size:           8
        .value_kind:     global_buffer
      - .offset:         80
        .size:           8
        .value_kind:     by_value
      - .offset:         88
        .size:           8
        .value_kind:     by_value
      - .offset:         96
        .size:           8
        .value_kind:     by_value
    .group_segment_fixed_size: 0
    .kernarg_segment_align: 8
    .kernarg_segment_size: 104
    .language:       OpenCL C
    .language_version:
      - 2
      - 0
    .max_flat_workgroup_size: 1024
    .name:           _ZL26rocblas_dgmm_gfx942_kernelILi32ELi32ELb1EPK19rocblas_complex_numIdEPS1_EviiT2_lllS5_lllT3_lll
    .private_segment_fixed_size: 0
    .sgpr_count:     4
    .sgpr_spill_count: 0
    .symbol:         _ZL26rocblas_dgmm_gfx942_kernelILi32ELi32ELb1EPK19rocblas_complex_numIdEPS1_EviiT2_lllS5_lllT3_lll.kd
    .uniform_work_group_size: 1
    .uses_dynamic_stack: false
    .vgpr_count:     0
    .vgpr_spill_count: 0
    .wavefront_size: 64
  - .args:
      - .offset:         0
        .size:           4
        .value_kind:     by_value
      - .offset:         4
        .size:           4
        .value_kind:     by_value
      - .address_space:  global
        .offset:         8
        .size:           8
        .value_kind:     global_buffer
      - .offset:         16
        .size:           8
        .value_kind:     by_value
      - .offset:         24
        .size:           8
        .value_kind:     by_value
      - .offset:         32
        .size:           8
        .value_kind:     by_value
      - .address_space:  global
        .offset:         40
        .size:           8
        .value_kind:     global_buffer
      - .offset:         48
        .size:           8
        .value_kind:     by_value
      - .offset:         56
        .size:           8
        .value_kind:     by_value
      - .offset:         64
        .size:           8
        .value_kind:     by_value
      - .address_space:  global
        .offset:         72
        .size:           8
        .value_kind:     global_buffer
      - .offset:         80
        .size:           8
        .value_kind:     by_value
      - .offset:         88
        .size:           8
        .value_kind:     by_value
      - .offset:         96
        .size:           8
        .value_kind:     by_value
      - .offset:         104
        .size:           4
        .value_kind:     by_value
      - .offset:         112
        .size:           4
        .value_kind:     hidden_block_count_x
      - .offset:         116
        .size:           4
        .value_kind:     hidden_block_count_y
      - .offset:         120
        .size:           4
        .value_kind:     hidden_block_count_z
      - .offset:         124
        .size:           2
        .value_kind:     hidden_group_size_x
      - .offset:         126
        .size:           2
        .value_kind:     hidden_group_size_y
      - .offset:         128
        .size:           2
        .value_kind:     hidden_group_size_z
      - .offset:         130
        .size:           2
        .value_kind:     hidden_remainder_x
      - .offset:         132
        .size:           2
        .value_kind:     hidden_remainder_y
      - .offset:         134
        .size:           2
        .value_kind:     hidden_remainder_z
      - .offset:         152
        .size:           8
        .value_kind:     hidden_global_offset_x
      - .offset:         160
        .size:           8
        .value_kind:     hidden_global_offset_y
      - .offset:         168
        .size:           8
        .value_kind:     hidden_global_offset_z
      - .offset:         176
        .size:           2
        .value_kind:     hidden_grid_dims
    .group_segment_fixed_size: 0
    .kernarg_segment_align: 8
    .kernarg_segment_size: 368
    .language:       OpenCL C
    .language_version:
      - 2
      - 0
    .max_flat_workgroup_size: 256
    .name:           _ZL19rocblas_dgmm_kernelILi16ELi16ELb1EPK19rocblas_complex_numIdEPS1_EviiT2_lllS5_lllT3_llli
    .private_segment_fixed_size: 0
    .sgpr_count:     48
    .sgpr_spill_count: 0
    .symbol:         _ZL19rocblas_dgmm_kernelILi16ELi16ELb1EPK19rocblas_complex_numIdEPS1_EviiT2_lllS5_lllT3_llli.kd
    .uniform_work_group_size: 1
    .uses_dynamic_stack: false
    .vgpr_count:     19
    .vgpr_spill_count: 0
    .wavefront_size: 64
  - .args:
      - .offset:         0
        .size:           4
        .value_kind:     by_value
      - .offset:         4
        .size:           4
        .value_kind:     by_value
      - .address_space:  global
        .offset:         8
        .size:           8
        .value_kind:     global_buffer
      - .offset:         16
        .size:           8
        .value_kind:     by_value
      - .offset:         24
        .size:           8
        .value_kind:     by_value
      - .offset:         32
        .size:           8
        .value_kind:     by_value
      - .address_space:  global
        .offset:         40
        .size:           8
        .value_kind:     global_buffer
      - .offset:         48
        .size:           8
        .value_kind:     by_value
      - .offset:         56
        .size:           8
        .value_kind:     by_value
      - .offset:         64
        .size:           8
        .value_kind:     by_value
      - .address_space:  global
        .offset:         72
        .size:           8
        .value_kind:     global_buffer
      - .offset:         80
        .size:           8
        .value_kind:     by_value
      - .offset:         88
        .size:           8
        .value_kind:     by_value
      - .offset:         96
        .size:           8
        .value_kind:     by_value
    .group_segment_fixed_size: 0
    .kernarg_segment_align: 8
    .kernarg_segment_size: 104
    .language:       OpenCL C
    .language_version:
      - 2
      - 0
    .max_flat_workgroup_size: 1024
    .name:           _ZL26rocblas_dgmm_gfx942_kernelILi32ELi32ELb0EPKPKfPKPfEviiT2_lllS7_lllT3_lll
    .private_segment_fixed_size: 0
    .sgpr_count:     4
    .sgpr_spill_count: 0
    .symbol:         _ZL26rocblas_dgmm_gfx942_kernelILi32ELi32ELb0EPKPKfPKPfEviiT2_lllS7_lllT3_lll.kd
    .uniform_work_group_size: 1
    .uses_dynamic_stack: false
    .vgpr_count:     0
    .vgpr_spill_count: 0
    .wavefront_size: 64
  - .args:
      - .offset:         0
        .size:           4
        .value_kind:     by_value
      - .offset:         4
        .size:           4
        .value_kind:     by_value
      - .address_space:  global
        .offset:         8
        .size:           8
        .value_kind:     global_buffer
      - .offset:         16
        .size:           8
        .value_kind:     by_value
      - .offset:         24
        .size:           8
        .value_kind:     by_value
      - .offset:         32
        .size:           8
        .value_kind:     by_value
      - .address_space:  global
        .offset:         40
        .size:           8
        .value_kind:     global_buffer
      - .offset:         48
        .size:           8
        .value_kind:     by_value
      - .offset:         56
        .size:           8
        .value_kind:     by_value
      - .offset:         64
        .size:           8
        .value_kind:     by_value
      - .address_space:  global
        .offset:         72
        .size:           8
        .value_kind:     global_buffer
      - .offset:         80
        .size:           8
        .value_kind:     by_value
      - .offset:         88
        .size:           8
        .value_kind:     by_value
      - .offset:         96
        .size:           8
        .value_kind:     by_value
      - .offset:         104
        .size:           4
        .value_kind:     by_value
      - .offset:         112
        .size:           4
        .value_kind:     hidden_block_count_x
      - .offset:         116
        .size:           4
        .value_kind:     hidden_block_count_y
      - .offset:         120
        .size:           4
        .value_kind:     hidden_block_count_z
      - .offset:         124
        .size:           2
        .value_kind:     hidden_group_size_x
      - .offset:         126
        .size:           2
        .value_kind:     hidden_group_size_y
      - .offset:         128
        .size:           2
        .value_kind:     hidden_group_size_z
      - .offset:         130
        .size:           2
        .value_kind:     hidden_remainder_x
      - .offset:         132
        .size:           2
        .value_kind:     hidden_remainder_y
      - .offset:         134
        .size:           2
        .value_kind:     hidden_remainder_z
      - .offset:         152
        .size:           8
        .value_kind:     hidden_global_offset_x
      - .offset:         160
        .size:           8
        .value_kind:     hidden_global_offset_y
      - .offset:         168
        .size:           8
        .value_kind:     hidden_global_offset_z
      - .offset:         176
        .size:           2
        .value_kind:     hidden_grid_dims
    .group_segment_fixed_size: 0
    .kernarg_segment_align: 8
    .kernarg_segment_size: 368
    .language:       OpenCL C
    .language_version:
      - 2
      - 0
    .max_flat_workgroup_size: 256
    .name:           _ZL19rocblas_dgmm_kernelILi16ELi16ELb0EPKPKfPKPfEviiT2_lllS7_lllT3_llli
    .private_segment_fixed_size: 0
    .sgpr_count:     27
    .sgpr_spill_count: 0
    .symbol:         _ZL19rocblas_dgmm_kernelILi16ELi16ELb0EPKPKfPKPfEviiT2_lllS7_lllT3_llli.kd
    .uniform_work_group_size: 1
    .uses_dynamic_stack: false
    .vgpr_count:     13
    .vgpr_spill_count: 0
    .wavefront_size: 64
  - .args:
      - .offset:         0
        .size:           4
        .value_kind:     by_value
      - .offset:         4
        .size:           4
        .value_kind:     by_value
      - .address_space:  global
        .offset:         8
        .size:           8
        .value_kind:     global_buffer
      - .offset:         16
        .size:           8
        .value_kind:     by_value
      - .offset:         24
        .size:           8
        .value_kind:     by_value
      - .offset:         32
        .size:           8
        .value_kind:     by_value
      - .address_space:  global
        .offset:         40
        .size:           8
        .value_kind:     global_buffer
      - .offset:         48
        .size:           8
        .value_kind:     by_value
      - .offset:         56
        .size:           8
        .value_kind:     by_value
      - .offset:         64
        .size:           8
        .value_kind:     by_value
      - .address_space:  global
        .offset:         72
        .size:           8
        .value_kind:     global_buffer
      - .offset:         80
        .size:           8
        .value_kind:     by_value
      - .offset:         88
        .size:           8
        .value_kind:     by_value
      - .offset:         96
        .size:           8
        .value_kind:     by_value
    .group_segment_fixed_size: 0
    .kernarg_segment_align: 8
    .kernarg_segment_size: 104
    .language:       OpenCL C
    .language_version:
      - 2
      - 0
    .max_flat_workgroup_size: 1024
    .name:           _ZL26rocblas_dgmm_gfx942_kernelILi32ELi32ELb1EPKPKfPKPfEviiT2_lllS7_lllT3_lll
    .private_segment_fixed_size: 0
    .sgpr_count:     4
    .sgpr_spill_count: 0
    .symbol:         _ZL26rocblas_dgmm_gfx942_kernelILi32ELi32ELb1EPKPKfPKPfEviiT2_lllS7_lllT3_lll.kd
    .uniform_work_group_size: 1
    .uses_dynamic_stack: false
    .vgpr_count:     0
    .vgpr_spill_count: 0
    .wavefront_size: 64
  - .args:
      - .offset:         0
        .size:           4
        .value_kind:     by_value
      - .offset:         4
        .size:           4
        .value_kind:     by_value
      - .address_space:  global
        .offset:         8
        .size:           8
        .value_kind:     global_buffer
      - .offset:         16
        .size:           8
        .value_kind:     by_value
      - .offset:         24
        .size:           8
        .value_kind:     by_value
      - .offset:         32
        .size:           8
        .value_kind:     by_value
      - .address_space:  global
        .offset:         40
        .size:           8
        .value_kind:     global_buffer
      - .offset:         48
        .size:           8
        .value_kind:     by_value
      - .offset:         56
        .size:           8
        .value_kind:     by_value
      - .offset:         64
        .size:           8
        .value_kind:     by_value
      - .address_space:  global
        .offset:         72
        .size:           8
        .value_kind:     global_buffer
      - .offset:         80
        .size:           8
        .value_kind:     by_value
      - .offset:         88
        .size:           8
        .value_kind:     by_value
      - .offset:         96
        .size:           8
        .value_kind:     by_value
      - .offset:         104
        .size:           4
        .value_kind:     by_value
      - .offset:         112
        .size:           4
        .value_kind:     hidden_block_count_x
      - .offset:         116
        .size:           4
        .value_kind:     hidden_block_count_y
      - .offset:         120
        .size:           4
        .value_kind:     hidden_block_count_z
      - .offset:         124
        .size:           2
        .value_kind:     hidden_group_size_x
      - .offset:         126
        .size:           2
        .value_kind:     hidden_group_size_y
      - .offset:         128
        .size:           2
        .value_kind:     hidden_group_size_z
      - .offset:         130
        .size:           2
        .value_kind:     hidden_remainder_x
      - .offset:         132
        .size:           2
        .value_kind:     hidden_remainder_y
      - .offset:         134
        .size:           2
        .value_kind:     hidden_remainder_z
      - .offset:         152
        .size:           8
        .value_kind:     hidden_global_offset_x
      - .offset:         160
        .size:           8
        .value_kind:     hidden_global_offset_y
      - .offset:         168
        .size:           8
        .value_kind:     hidden_global_offset_z
      - .offset:         176
        .size:           2
        .value_kind:     hidden_grid_dims
    .group_segment_fixed_size: 0
    .kernarg_segment_align: 8
    .kernarg_segment_size: 368
    .language:       OpenCL C
    .language_version:
      - 2
      - 0
    .max_flat_workgroup_size: 256
    .name:           _ZL19rocblas_dgmm_kernelILi16ELi16ELb1EPKPKfPKPfEviiT2_lllS7_lllT3_llli
    .private_segment_fixed_size: 0
    .sgpr_count:     28
    .sgpr_spill_count: 0
    .symbol:         _ZL19rocblas_dgmm_kernelILi16ELi16ELb1EPKPKfPKPfEviiT2_lllS7_lllT3_llli.kd
    .uniform_work_group_size: 1
    .uses_dynamic_stack: false
    .vgpr_count:     15
    .vgpr_spill_count: 0
    .wavefront_size: 64
  - .args:
      - .offset:         0
        .size:           4
        .value_kind:     by_value
      - .offset:         4
        .size:           4
        .value_kind:     by_value
      - .address_space:  global
        .offset:         8
        .size:           8
        .value_kind:     global_buffer
      - .offset:         16
        .size:           8
        .value_kind:     by_value
      - .offset:         24
        .size:           8
        .value_kind:     by_value
      - .offset:         32
        .size:           8
        .value_kind:     by_value
      - .address_space:  global
        .offset:         40
        .size:           8
        .value_kind:     global_buffer
      - .offset:         48
        .size:           8
        .value_kind:     by_value
      - .offset:         56
        .size:           8
        .value_kind:     by_value
      - .offset:         64
        .size:           8
        .value_kind:     by_value
      - .address_space:  global
        .offset:         72
        .size:           8
        .value_kind:     global_buffer
      - .offset:         80
        .size:           8
        .value_kind:     by_value
      - .offset:         88
        .size:           8
        .value_kind:     by_value
      - .offset:         96
        .size:           8
        .value_kind:     by_value
    .group_segment_fixed_size: 0
    .kernarg_segment_align: 8
    .kernarg_segment_size: 104
    .language:       OpenCL C
    .language_version:
      - 2
      - 0
    .max_flat_workgroup_size: 1024
    .name:           _ZL26rocblas_dgmm_gfx942_kernelILi32ELi32ELb0EPKPKdPKPdEviiT2_lllS7_lllT3_lll
    .private_segment_fixed_size: 0
    .sgpr_count:     4
    .sgpr_spill_count: 0
    .symbol:         _ZL26rocblas_dgmm_gfx942_kernelILi32ELi32ELb0EPKPKdPKPdEviiT2_lllS7_lllT3_lll.kd
    .uniform_work_group_size: 1
    .uses_dynamic_stack: false
    .vgpr_count:     0
    .vgpr_spill_count: 0
    .wavefront_size: 64
  - .args:
      - .offset:         0
        .size:           4
        .value_kind:     by_value
      - .offset:         4
        .size:           4
        .value_kind:     by_value
      - .address_space:  global
        .offset:         8
        .size:           8
        .value_kind:     global_buffer
      - .offset:         16
        .size:           8
        .value_kind:     by_value
      - .offset:         24
        .size:           8
        .value_kind:     by_value
      - .offset:         32
        .size:           8
        .value_kind:     by_value
      - .address_space:  global
        .offset:         40
        .size:           8
        .value_kind:     global_buffer
      - .offset:         48
        .size:           8
        .value_kind:     by_value
      - .offset:         56
        .size:           8
        .value_kind:     by_value
      - .offset:         64
        .size:           8
        .value_kind:     by_value
      - .address_space:  global
        .offset:         72
        .size:           8
        .value_kind:     global_buffer
      - .offset:         80
        .size:           8
        .value_kind:     by_value
      - .offset:         88
        .size:           8
        .value_kind:     by_value
      - .offset:         96
        .size:           8
        .value_kind:     by_value
      - .offset:         104
        .size:           4
        .value_kind:     by_value
      - .offset:         112
        .size:           4
        .value_kind:     hidden_block_count_x
      - .offset:         116
        .size:           4
        .value_kind:     hidden_block_count_y
      - .offset:         120
        .size:           4
        .value_kind:     hidden_block_count_z
      - .offset:         124
        .size:           2
        .value_kind:     hidden_group_size_x
      - .offset:         126
        .size:           2
        .value_kind:     hidden_group_size_y
      - .offset:         128
        .size:           2
        .value_kind:     hidden_group_size_z
      - .offset:         130
        .size:           2
        .value_kind:     hidden_remainder_x
      - .offset:         132
        .size:           2
        .value_kind:     hidden_remainder_y
      - .offset:         134
        .size:           2
        .value_kind:     hidden_remainder_z
      - .offset:         152
        .size:           8
        .value_kind:     hidden_global_offset_x
      - .offset:         160
        .size:           8
        .value_kind:     hidden_global_offset_y
      - .offset:         168
        .size:           8
        .value_kind:     hidden_global_offset_z
      - .offset:         176
        .size:           2
        .value_kind:     hidden_grid_dims
    .group_segment_fixed_size: 0
    .kernarg_segment_align: 8
    .kernarg_segment_size: 368
    .language:       OpenCL C
    .language_version:
      - 2
      - 0
    .max_flat_workgroup_size: 256
    .name:           _ZL19rocblas_dgmm_kernelILi16ELi16ELb0EPKPKdPKPdEviiT2_lllS7_lllT3_llli
    .private_segment_fixed_size: 0
    .sgpr_count:     27
    .sgpr_spill_count: 0
    .symbol:         _ZL19rocblas_dgmm_kernelILi16ELi16ELb0EPKPKdPKPdEviiT2_lllS7_lllT3_llli.kd
    .uniform_work_group_size: 1
    .uses_dynamic_stack: false
    .vgpr_count:     15
    .vgpr_spill_count: 0
    .wavefront_size: 64
  - .args:
      - .offset:         0
        .size:           4
        .value_kind:     by_value
      - .offset:         4
        .size:           4
        .value_kind:     by_value
      - .address_space:  global
        .offset:         8
        .size:           8
        .value_kind:     global_buffer
      - .offset:         16
        .size:           8
        .value_kind:     by_value
      - .offset:         24
        .size:           8
        .value_kind:     by_value
      - .offset:         32
        .size:           8
        .value_kind:     by_value
      - .address_space:  global
        .offset:         40
        .size:           8
        .value_kind:     global_buffer
      - .offset:         48
        .size:           8
        .value_kind:     by_value
      - .offset:         56
        .size:           8
        .value_kind:     by_value
      - .offset:         64
        .size:           8
        .value_kind:     by_value
      - .address_space:  global
        .offset:         72
        .size:           8
        .value_kind:     global_buffer
      - .offset:         80
        .size:           8
        .value_kind:     by_value
      - .offset:         88
        .size:           8
        .value_kind:     by_value
      - .offset:         96
        .size:           8
        .value_kind:     by_value
    .group_segment_fixed_size: 0
    .kernarg_segment_align: 8
    .kernarg_segment_size: 104
    .language:       OpenCL C
    .language_version:
      - 2
      - 0
    .max_flat_workgroup_size: 1024
    .name:           _ZL26rocblas_dgmm_gfx942_kernelILi32ELi32ELb1EPKPKdPKPdEviiT2_lllS7_lllT3_lll
    .private_segment_fixed_size: 0
    .sgpr_count:     4
    .sgpr_spill_count: 0
    .symbol:         _ZL26rocblas_dgmm_gfx942_kernelILi32ELi32ELb1EPKPKdPKPdEviiT2_lllS7_lllT3_lll.kd
    .uniform_work_group_size: 1
    .uses_dynamic_stack: false
    .vgpr_count:     0
    .vgpr_spill_count: 0
    .wavefront_size: 64
  - .args:
      - .offset:         0
        .size:           4
        .value_kind:     by_value
      - .offset:         4
        .size:           4
        .value_kind:     by_value
      - .address_space:  global
        .offset:         8
        .size:           8
        .value_kind:     global_buffer
      - .offset:         16
        .size:           8
        .value_kind:     by_value
      - .offset:         24
        .size:           8
        .value_kind:     by_value
      - .offset:         32
        .size:           8
        .value_kind:     by_value
      - .address_space:  global
        .offset:         40
        .size:           8
        .value_kind:     global_buffer
      - .offset:         48
        .size:           8
        .value_kind:     by_value
      - .offset:         56
        .size:           8
        .value_kind:     by_value
      - .offset:         64
        .size:           8
        .value_kind:     by_value
      - .address_space:  global
        .offset:         72
        .size:           8
        .value_kind:     global_buffer
      - .offset:         80
        .size:           8
        .value_kind:     by_value
      - .offset:         88
        .size:           8
        .value_kind:     by_value
      - .offset:         96
        .size:           8
        .value_kind:     by_value
      - .offset:         104
        .size:           4
        .value_kind:     by_value
      - .offset:         112
        .size:           4
        .value_kind:     hidden_block_count_x
      - .offset:         116
        .size:           4
        .value_kind:     hidden_block_count_y
      - .offset:         120
        .size:           4
        .value_kind:     hidden_block_count_z
      - .offset:         124
        .size:           2
        .value_kind:     hidden_group_size_x
      - .offset:         126
        .size:           2
        .value_kind:     hidden_group_size_y
      - .offset:         128
        .size:           2
        .value_kind:     hidden_group_size_z
      - .offset:         130
        .size:           2
        .value_kind:     hidden_remainder_x
      - .offset:         132
        .size:           2
        .value_kind:     hidden_remainder_y
      - .offset:         134
        .size:           2
        .value_kind:     hidden_remainder_z
      - .offset:         152
        .size:           8
        .value_kind:     hidden_global_offset_x
      - .offset:         160
        .size:           8
        .value_kind:     hidden_global_offset_y
      - .offset:         168
        .size:           8
        .value_kind:     hidden_global_offset_z
      - .offset:         176
        .size:           2
        .value_kind:     hidden_grid_dims
    .group_segment_fixed_size: 0
    .kernarg_segment_align: 8
    .kernarg_segment_size: 368
    .language:       OpenCL C
    .language_version:
      - 2
      - 0
    .max_flat_workgroup_size: 256
    .name:           _ZL19rocblas_dgmm_kernelILi16ELi16ELb1EPKPKdPKPdEviiT2_lllS7_lllT3_llli
    .private_segment_fixed_size: 0
    .sgpr_count:     28
    .sgpr_spill_count: 0
    .symbol:         _ZL19rocblas_dgmm_kernelILi16ELi16ELb1EPKPKdPKPdEviiT2_lllS7_lllT3_llli.kd
    .uniform_work_group_size: 1
    .uses_dynamic_stack: false
    .vgpr_count:     16
    .vgpr_spill_count: 0
    .wavefront_size: 64
  - .args:
      - .offset:         0
        .size:           4
        .value_kind:     by_value
      - .offset:         4
        .size:           4
        .value_kind:     by_value
      - .address_space:  global
        .offset:         8
        .size:           8
        .value_kind:     global_buffer
      - .offset:         16
        .size:           8
        .value_kind:     by_value
      - .offset:         24
        .size:           8
        .value_kind:     by_value
      - .offset:         32
        .size:           8
        .value_kind:     by_value
      - .address_space:  global
        .offset:         40
        .size:           8
        .value_kind:     global_buffer
      - .offset:         48
        .size:           8
        .value_kind:     by_value
      - .offset:         56
        .size:           8
        .value_kind:     by_value
      - .offset:         64
        .size:           8
        .value_kind:     by_value
      - .address_space:  global
        .offset:         72
        .size:           8
        .value_kind:     global_buffer
      - .offset:         80
        .size:           8
        .value_kind:     by_value
      - .offset:         88
        .size:           8
        .value_kind:     by_value
      - .offset:         96
        .size:           8
        .value_kind:     by_value
    .group_segment_fixed_size: 0
    .kernarg_segment_align: 8
    .kernarg_segment_size: 104
    .language:       OpenCL C
    .language_version:
      - 2
      - 0
    .max_flat_workgroup_size: 1024
    .name:           _ZL26rocblas_dgmm_gfx942_kernelILi32ELi32ELb0EPKPK19rocblas_complex_numIfEPKPS1_EviiT2_lllS9_lllT3_lll
    .private_segment_fixed_size: 0
    .sgpr_count:     4
    .sgpr_spill_count: 0
    .symbol:         _ZL26rocblas_dgmm_gfx942_kernelILi32ELi32ELb0EPKPK19rocblas_complex_numIfEPKPS1_EviiT2_lllS9_lllT3_lll.kd
    .uniform_work_group_size: 1
    .uses_dynamic_stack: false
    .vgpr_count:     0
    .vgpr_spill_count: 0
    .wavefront_size: 64
  - .args:
      - .offset:         0
        .size:           4
        .value_kind:     by_value
      - .offset:         4
        .size:           4
        .value_kind:     by_value
      - .address_space:  global
        .offset:         8
        .size:           8
        .value_kind:     global_buffer
      - .offset:         16
        .size:           8
        .value_kind:     by_value
      - .offset:         24
        .size:           8
        .value_kind:     by_value
      - .offset:         32
        .size:           8
        .value_kind:     by_value
      - .address_space:  global
        .offset:         40
        .size:           8
        .value_kind:     global_buffer
      - .offset:         48
        .size:           8
        .value_kind:     by_value
      - .offset:         56
        .size:           8
        .value_kind:     by_value
      - .offset:         64
        .size:           8
        .value_kind:     by_value
      - .address_space:  global
        .offset:         72
        .size:           8
        .value_kind:     global_buffer
      - .offset:         80
        .size:           8
        .value_kind:     by_value
      - .offset:         88
        .size:           8
        .value_kind:     by_value
      - .offset:         96
        .size:           8
        .value_kind:     by_value
      - .offset:         104
        .size:           4
        .value_kind:     by_value
      - .offset:         112
        .size:           4
        .value_kind:     hidden_block_count_x
      - .offset:         116
        .size:           4
        .value_kind:     hidden_block_count_y
      - .offset:         120
        .size:           4
        .value_kind:     hidden_block_count_z
      - .offset:         124
        .size:           2
        .value_kind:     hidden_group_size_x
      - .offset:         126
        .size:           2
        .value_kind:     hidden_group_size_y
      - .offset:         128
        .size:           2
        .value_kind:     hidden_group_size_z
      - .offset:         130
        .size:           2
        .value_kind:     hidden_remainder_x
      - .offset:         132
        .size:           2
        .value_kind:     hidden_remainder_y
      - .offset:         134
        .size:           2
        .value_kind:     hidden_remainder_z
      - .offset:         152
        .size:           8
        .value_kind:     hidden_global_offset_x
      - .offset:         160
        .size:           8
        .value_kind:     hidden_global_offset_y
      - .offset:         168
        .size:           8
        .value_kind:     hidden_global_offset_z
      - .offset:         176
        .size:           2
        .value_kind:     hidden_grid_dims
    .group_segment_fixed_size: 0
    .kernarg_segment_align: 8
    .kernarg_segment_size: 368
    .language:       OpenCL C
    .language_version:
      - 2
      - 0
    .max_flat_workgroup_size: 256
    .name:           _ZL19rocblas_dgmm_kernelILi16ELi16ELb0EPKPK19rocblas_complex_numIfEPKPS1_EviiT2_lllS9_lllT3_llli
    .private_segment_fixed_size: 0
    .sgpr_count:     27
    .sgpr_spill_count: 0
    .symbol:         _ZL19rocblas_dgmm_kernelILi16ELi16ELb0EPKPK19rocblas_complex_numIfEPKPS1_EviiT2_lllS9_lllT3_llli.kd
    .uniform_work_group_size: 1
    .uses_dynamic_stack: false
    .vgpr_count:     15
    .vgpr_spill_count: 0
    .wavefront_size: 64
  - .args:
      - .offset:         0
        .size:           4
        .value_kind:     by_value
      - .offset:         4
        .size:           4
        .value_kind:     by_value
      - .address_space:  global
        .offset:         8
        .size:           8
        .value_kind:     global_buffer
      - .offset:         16
        .size:           8
        .value_kind:     by_value
      - .offset:         24
        .size:           8
        .value_kind:     by_value
      - .offset:         32
        .size:           8
        .value_kind:     by_value
      - .address_space:  global
        .offset:         40
        .size:           8
        .value_kind:     global_buffer
      - .offset:         48
        .size:           8
        .value_kind:     by_value
      - .offset:         56
        .size:           8
        .value_kind:     by_value
      - .offset:         64
        .size:           8
        .value_kind:     by_value
      - .address_space:  global
        .offset:         72
        .size:           8
        .value_kind:     global_buffer
      - .offset:         80
        .size:           8
        .value_kind:     by_value
      - .offset:         88
        .size:           8
        .value_kind:     by_value
      - .offset:         96
        .size:           8
        .value_kind:     by_value
    .group_segment_fixed_size: 0
    .kernarg_segment_align: 8
    .kernarg_segment_size: 104
    .language:       OpenCL C
    .language_version:
      - 2
      - 0
    .max_flat_workgroup_size: 1024
    .name:           _ZL26rocblas_dgmm_gfx942_kernelILi32ELi32ELb1EPKPK19rocblas_complex_numIfEPKPS1_EviiT2_lllS9_lllT3_lll
    .private_segment_fixed_size: 0
    .sgpr_count:     4
    .sgpr_spill_count: 0
    .symbol:         _ZL26rocblas_dgmm_gfx942_kernelILi32ELi32ELb1EPKPK19rocblas_complex_numIfEPKPS1_EviiT2_lllS9_lllT3_lll.kd
    .uniform_work_group_size: 1
    .uses_dynamic_stack: false
    .vgpr_count:     0
    .vgpr_spill_count: 0
    .wavefront_size: 64
  - .args:
      - .offset:         0
        .size:           4
        .value_kind:     by_value
      - .offset:         4
        .size:           4
        .value_kind:     by_value
      - .address_space:  global
        .offset:         8
        .size:           8
        .value_kind:     global_buffer
      - .offset:         16
        .size:           8
        .value_kind:     by_value
      - .offset:         24
        .size:           8
        .value_kind:     by_value
      - .offset:         32
        .size:           8
        .value_kind:     by_value
      - .address_space:  global
        .offset:         40
        .size:           8
        .value_kind:     global_buffer
      - .offset:         48
        .size:           8
        .value_kind:     by_value
      - .offset:         56
        .size:           8
        .value_kind:     by_value
      - .offset:         64
        .size:           8
        .value_kind:     by_value
      - .address_space:  global
        .offset:         72
        .size:           8
        .value_kind:     global_buffer
      - .offset:         80
        .size:           8
        .value_kind:     by_value
      - .offset:         88
        .size:           8
        .value_kind:     by_value
      - .offset:         96
        .size:           8
        .value_kind:     by_value
      - .offset:         104
        .size:           4
        .value_kind:     by_value
      - .offset:         112
        .size:           4
        .value_kind:     hidden_block_count_x
      - .offset:         116
        .size:           4
        .value_kind:     hidden_block_count_y
      - .offset:         120
        .size:           4
        .value_kind:     hidden_block_count_z
      - .offset:         124
        .size:           2
        .value_kind:     hidden_group_size_x
      - .offset:         126
        .size:           2
        .value_kind:     hidden_group_size_y
      - .offset:         128
        .size:           2
        .value_kind:     hidden_group_size_z
      - .offset:         130
        .size:           2
        .value_kind:     hidden_remainder_x
      - .offset:         132
        .size:           2
        .value_kind:     hidden_remainder_y
      - .offset:         134
        .size:           2
        .value_kind:     hidden_remainder_z
      - .offset:         152
        .size:           8
        .value_kind:     hidden_global_offset_x
      - .offset:         160
        .size:           8
        .value_kind:     hidden_global_offset_y
      - .offset:         168
        .size:           8
        .value_kind:     hidden_global_offset_z
      - .offset:         176
        .size:           2
        .value_kind:     hidden_grid_dims
    .group_segment_fixed_size: 0
    .kernarg_segment_align: 8
    .kernarg_segment_size: 368
    .language:       OpenCL C
    .language_version:
      - 2
      - 0
    .max_flat_workgroup_size: 256
    .name:           _ZL19rocblas_dgmm_kernelILi16ELi16ELb1EPKPK19rocblas_complex_numIfEPKPS1_EviiT2_lllS9_lllT3_llli
    .private_segment_fixed_size: 0
    .sgpr_count:     28
    .sgpr_spill_count: 0
    .symbol:         _ZL19rocblas_dgmm_kernelILi16ELi16ELb1EPKPK19rocblas_complex_numIfEPKPS1_EviiT2_lllS9_lllT3_llli.kd
    .uniform_work_group_size: 1
    .uses_dynamic_stack: false
    .vgpr_count:     15
    .vgpr_spill_count: 0
    .wavefront_size: 64
  - .args:
      - .offset:         0
        .size:           4
        .value_kind:     by_value
      - .offset:         4
        .size:           4
        .value_kind:     by_value
      - .address_space:  global
        .offset:         8
        .size:           8
        .value_kind:     global_buffer
      - .offset:         16
        .size:           8
        .value_kind:     by_value
      - .offset:         24
        .size:           8
        .value_kind:     by_value
      - .offset:         32
        .size:           8
        .value_kind:     by_value
      - .address_space:  global
        .offset:         40
        .size:           8
        .value_kind:     global_buffer
      - .offset:         48
        .size:           8
        .value_kind:     by_value
      - .offset:         56
        .size:           8
        .value_kind:     by_value
      - .offset:         64
        .size:           8
        .value_kind:     by_value
      - .address_space:  global
        .offset:         72
        .size:           8
        .value_kind:     global_buffer
      - .offset:         80
        .size:           8
        .value_kind:     by_value
      - .offset:         88
        .size:           8
        .value_kind:     by_value
      - .offset:         96
        .size:           8
        .value_kind:     by_value
    .group_segment_fixed_size: 0
    .kernarg_segment_align: 8
    .kernarg_segment_size: 104
    .language:       OpenCL C
    .language_version:
      - 2
      - 0
    .max_flat_workgroup_size: 1024
    .name:           _ZL26rocblas_dgmm_gfx942_kernelILi32ELi32ELb0EPKPK19rocblas_complex_numIdEPKPS1_EviiT2_lllS9_lllT3_lll
    .private_segment_fixed_size: 0
    .sgpr_count:     4
    .sgpr_spill_count: 0
    .symbol:         _ZL26rocblas_dgmm_gfx942_kernelILi32ELi32ELb0EPKPK19rocblas_complex_numIdEPKPS1_EviiT2_lllS9_lllT3_lll.kd
    .uniform_work_group_size: 1
    .uses_dynamic_stack: false
    .vgpr_count:     0
    .vgpr_spill_count: 0
    .wavefront_size: 64
  - .args:
      - .offset:         0
        .size:           4
        .value_kind:     by_value
      - .offset:         4
        .size:           4
        .value_kind:     by_value
      - .address_space:  global
        .offset:         8
        .size:           8
        .value_kind:     global_buffer
      - .offset:         16
        .size:           8
        .value_kind:     by_value
      - .offset:         24
        .size:           8
        .value_kind:     by_value
      - .offset:         32
        .size:           8
        .value_kind:     by_value
      - .address_space:  global
        .offset:         40
        .size:           8
        .value_kind:     global_buffer
      - .offset:         48
        .size:           8
        .value_kind:     by_value
      - .offset:         56
        .size:           8
        .value_kind:     by_value
      - .offset:         64
        .size:           8
        .value_kind:     by_value
      - .address_space:  global
        .offset:         72
        .size:           8
        .value_kind:     global_buffer
      - .offset:         80
        .size:           8
        .value_kind:     by_value
      - .offset:         88
        .size:           8
        .value_kind:     by_value
      - .offset:         96
        .size:           8
        .value_kind:     by_value
      - .offset:         104
        .size:           4
        .value_kind:     by_value
      - .offset:         112
        .size:           4
        .value_kind:     hidden_block_count_x
      - .offset:         116
        .size:           4
        .value_kind:     hidden_block_count_y
      - .offset:         120
        .size:           4
        .value_kind:     hidden_block_count_z
      - .offset:         124
        .size:           2
        .value_kind:     hidden_group_size_x
      - .offset:         126
        .size:           2
        .value_kind:     hidden_group_size_y
      - .offset:         128
        .size:           2
        .value_kind:     hidden_group_size_z
      - .offset:         130
        .size:           2
        .value_kind:     hidden_remainder_x
      - .offset:         132
        .size:           2
        .value_kind:     hidden_remainder_y
      - .offset:         134
        .size:           2
        .value_kind:     hidden_remainder_z
      - .offset:         152
        .size:           8
        .value_kind:     hidden_global_offset_x
      - .offset:         160
        .size:           8
        .value_kind:     hidden_global_offset_y
      - .offset:         168
        .size:           8
        .value_kind:     hidden_global_offset_z
      - .offset:         176
        .size:           2
        .value_kind:     hidden_grid_dims
    .group_segment_fixed_size: 0
    .kernarg_segment_align: 8
    .kernarg_segment_size: 368
    .language:       OpenCL C
    .language_version:
      - 2
      - 0
    .max_flat_workgroup_size: 256
    .name:           _ZL19rocblas_dgmm_kernelILi16ELi16ELb0EPKPK19rocblas_complex_numIdEPKPS1_EviiT2_lllS9_lllT3_llli
    .private_segment_fixed_size: 0
    .sgpr_count:     27
    .sgpr_spill_count: 0
    .symbol:         _ZL19rocblas_dgmm_kernelILi16ELi16ELb0EPKPK19rocblas_complex_numIdEPKPS1_EviiT2_lllS9_lllT3_llli.kd
    .uniform_work_group_size: 1
    .uses_dynamic_stack: false
    .vgpr_count:     18
    .vgpr_spill_count: 0
    .wavefront_size: 64
  - .args:
      - .offset:         0
        .size:           4
        .value_kind:     by_value
      - .offset:         4
        .size:           4
        .value_kind:     by_value
      - .address_space:  global
        .offset:         8
        .size:           8
        .value_kind:     global_buffer
      - .offset:         16
        .size:           8
        .value_kind:     by_value
      - .offset:         24
        .size:           8
        .value_kind:     by_value
      - .offset:         32
        .size:           8
        .value_kind:     by_value
      - .address_space:  global
        .offset:         40
        .size:           8
        .value_kind:     global_buffer
      - .offset:         48
        .size:           8
        .value_kind:     by_value
      - .offset:         56
        .size:           8
        .value_kind:     by_value
      - .offset:         64
        .size:           8
        .value_kind:     by_value
      - .address_space:  global
        .offset:         72
        .size:           8
        .value_kind:     global_buffer
      - .offset:         80
        .size:           8
        .value_kind:     by_value
      - .offset:         88
        .size:           8
        .value_kind:     by_value
      - .offset:         96
        .size:           8
        .value_kind:     by_value
    .group_segment_fixed_size: 0
    .kernarg_segment_align: 8
    .kernarg_segment_size: 104
    .language:       OpenCL C
    .language_version:
      - 2
      - 0
    .max_flat_workgroup_size: 1024
    .name:           _ZL26rocblas_dgmm_gfx942_kernelILi32ELi32ELb1EPKPK19rocblas_complex_numIdEPKPS1_EviiT2_lllS9_lllT3_lll
    .private_segment_fixed_size: 0
    .sgpr_count:     4
    .sgpr_spill_count: 0
    .symbol:         _ZL26rocblas_dgmm_gfx942_kernelILi32ELi32ELb1EPKPK19rocblas_complex_numIdEPKPS1_EviiT2_lllS9_lllT3_lll.kd
    .uniform_work_group_size: 1
    .uses_dynamic_stack: false
    .vgpr_count:     0
    .vgpr_spill_count: 0
    .wavefront_size: 64
  - .args:
      - .offset:         0
        .size:           4
        .value_kind:     by_value
      - .offset:         4
        .size:           4
        .value_kind:     by_value
      - .address_space:  global
        .offset:         8
        .size:           8
        .value_kind:     global_buffer
      - .offset:         16
        .size:           8
        .value_kind:     by_value
      - .offset:         24
        .size:           8
        .value_kind:     by_value
      - .offset:         32
        .size:           8
        .value_kind:     by_value
      - .address_space:  global
        .offset:         40
        .size:           8
        .value_kind:     global_buffer
      - .offset:         48
        .size:           8
        .value_kind:     by_value
      - .offset:         56
        .size:           8
        .value_kind:     by_value
      - .offset:         64
        .size:           8
        .value_kind:     by_value
      - .address_space:  global
        .offset:         72
        .size:           8
        .value_kind:     global_buffer
      - .offset:         80
        .size:           8
        .value_kind:     by_value
      - .offset:         88
        .size:           8
        .value_kind:     by_value
      - .offset:         96
        .size:           8
        .value_kind:     by_value
      - .offset:         104
        .size:           4
        .value_kind:     by_value
      - .offset:         112
        .size:           4
        .value_kind:     hidden_block_count_x
      - .offset:         116
        .size:           4
        .value_kind:     hidden_block_count_y
      - .offset:         120
        .size:           4
        .value_kind:     hidden_block_count_z
      - .offset:         124
        .size:           2
        .value_kind:     hidden_group_size_x
      - .offset:         126
        .size:           2
        .value_kind:     hidden_group_size_y
      - .offset:         128
        .size:           2
        .value_kind:     hidden_group_size_z
      - .offset:         130
        .size:           2
        .value_kind:     hidden_remainder_x
      - .offset:         132
        .size:           2
        .value_kind:     hidden_remainder_y
      - .offset:         134
        .size:           2
        .value_kind:     hidden_remainder_z
      - .offset:         152
        .size:           8
        .value_kind:     hidden_global_offset_x
      - .offset:         160
        .size:           8
        .value_kind:     hidden_global_offset_y
      - .offset:         168
        .size:           8
        .value_kind:     hidden_global_offset_z
      - .offset:         176
        .size:           2
        .value_kind:     hidden_grid_dims
    .group_segment_fixed_size: 0
    .kernarg_segment_align: 8
    .kernarg_segment_size: 368
    .language:       OpenCL C
    .language_version:
      - 2
      - 0
    .max_flat_workgroup_size: 256
    .name:           _ZL19rocblas_dgmm_kernelILi16ELi16ELb1EPKPK19rocblas_complex_numIdEPKPS1_EviiT2_lllS9_lllT3_llli
    .private_segment_fixed_size: 0
    .sgpr_count:     28
    .sgpr_spill_count: 0
    .symbol:         _ZL19rocblas_dgmm_kernelILi16ELi16ELb1EPKPK19rocblas_complex_numIdEPKPS1_EviiT2_lllS9_lllT3_llli.kd
    .uniform_work_group_size: 1
    .uses_dynamic_stack: false
    .vgpr_count:     19
    .vgpr_spill_count: 0
    .wavefront_size: 64
amdhsa.target:   amdgcn-amd-amdhsa--gfx906
amdhsa.version:
  - 1
  - 2
...

	.end_amdgpu_metadata
